;; amdgpu-corpus repo=ROCm/aiter kind=harvested arch=n/a opt=n/a

/root/src/amdgpu-assembly/repos/ROCm__aiter/hsa/gfx950/fmoe_2stages/fmoe_stage1_bf16_pertokenFp8_blockscale_g1u1_80x128_pf3.co:	file format elf64-amdgpu

Disassembly of section .text:

0000000000002a00 <_ZN5aiter55fmoe_stage1_bf16_pertokenFp8_blockscale_g1u1_80x128_pf3E>:
	s_and_b32 s1, s1, 0xffff                                   // 000000002A00: 8601FF01 0000FFFF
	s_load_dwordx2 s[8:9], s[0:1], 0x0                         // 000000002A08: C0060200 00000000
	s_load_dwordx2 s[20:21], s[0:1], 0x10                      // 000000002A10: C0060500 00000010
	s_load_dwordx2 s[24:25], s[0:1], 0x20                      // 000000002A18: C0060600 00000020
	s_load_dwordx2 s[48:49], s[0:1], 0x30                      // 000000002A20: C0060C00 00000030
	s_load_dwordx2 s[28:29], s[0:1], 0x40                      // 000000002A28: C0060700 00000040
	s_load_dwordx2 s[32:33], s[0:1], 0x50                      // 000000002A30: C0060800 00000050
	s_load_dwordx2 s[36:37], s[0:1], 0x60                      // 000000002A38: C0060900 00000060
	s_load_dwordx2 s[12:13], s[0:1], 0x70                      // 000000002A40: C0060300 00000070
	s_load_dwordx2 s[44:45], s[0:1], 0x80                      // 000000002A48: C0060B00 00000080
	s_mov_b32 s89, 0                                           // 000000002A50: BED90080
	s_load_dword s64, s[0:1], 0x90                             // 000000002A54: C0021000 00000090
	s_load_dword s65, s[0:1], 0xa0                             // 000000002A5C: C0021040 000000A0
	s_load_dword s66, s[0:1], 0xb0                             // 000000002A64: C0021080 000000B0
	s_load_dword s67, s[0:1], 0xc0                             // 000000002A6C: C00210C0 000000C0
	s_load_dword s68, s[0:1], 0xd0                             // 000000002A74: C0021100 000000D0
	s_load_dword s69, s[0:1], 0xe0                             // 000000002A7C: C0021140 000000E0
	s_load_dword s71, s[0:1], 0xf0                             // 000000002A84: C00211C0 000000F0
	s_load_dword s72, s[0:1], 0x100                            // 000000002A8C: C0021200 00000100
	s_load_dword s74, s[0:1], 0x110                            // 000000002A94: C0021280 00000110
	s_load_dword s76, s[0:1], 0x120                            // 000000002A9C: C0021300 00000120
	s_load_dword s56, s[0:1], 0x130                            // 000000002AA4: C0020E00 00000130
	s_load_dword s88, s[0:1], 0x140                            // 000000002AAC: C0021600 00000140
	s_load_dword s89, s[0:1], 0x150                            // 000000002AB4: C0021640 00000150
	v_lshrrev_b32_e32 v1, 10, v0                               // 000000002ABC: 2002008A
	v_lshrrev_b32_e32 v2, 10, v1                               // 000000002AC0: 2004028A
	v_and_b32_e32 v2, 0x3ff, v2                                // 000000002AC4: 260404FF 000003FF
	v_and_b32_e32 v1, 0x3ff, v1                                // 000000002ACC: 260202FF 000003FF
	v_and_b32_e32 v0, 0x3ff, v0                                // 000000002AD4: 260000FF 000003FF
	v_lshrrev_b32_e32 v3, 6, v0                                // 000000002ADC: 20060086
	v_and_b32_e32 v0, 63, v0                                   // 000000002AE0: 260000BF
	s_mov_b32 s2, s2                                           // 000000002AE4: BE820002
	s_mov_b32 s3, s3                                           // 000000002AE8: BE830003
	s_mov_b32 s4, s4                                           // 000000002AEC: BE840004
	v_readfirstlane_b32 s7, v3                                 // 000000002AF0: 7E0E0503
	s_waitcnt lgkmcnt(0)                                       // 000000002AF4: BF8CC07F
	s_and_b32 s49, s49, 0xffff                                 // 000000002AF8: 8631FF31 0000FFFF
	s_load_dword s48, s[48:49], 0x0                            // 000000002B00: C0020C18 00000000
	s_and_b32 s45, s45, 0xffff                                 // 000000002B08: 862DFF2D 0000FFFF
	s_and_b32 s9, s9, 0xffff                                   // 000000002B10: 8609FF09 0000FFFF
	s_mul_i32 s60, s66, s68                                    // 000000002B18: 923C4442
	s_mul_i32 s61, s66, 4                                      // 000000002B1C: 923D8442
	s_mov_b32 s22, s60                                         // 000000002B20: BE96003C
	s_mov_b32 s26, -16                                         // 000000002B24: BE9A00D0
	s_mov_b32 s30, s61                                         // 000000002B28: BE9E003D
	s_mov_b32 s14, 0x140                                       // 000000002B2C: BE8E00FF 00000140
	s_mov_b32 s38, -16                                         // 000000002B34: BEA600D0
	s_mov_b32 s10, -16                                         // 000000002B38: BE8A00D0
	s_lshr_b32 s60, s64, 7                                     // 000000002B3C: 8F3C8740
	s_mul_i32 s61, s60, 4                                      // 000000002B40: 923D843C
	s_lshr_b32 s60, s65, 7                                     // 000000002B44: 8F3C8741
	s_add_u32 s60, s60, 1                                      // 000000002B48: 803C813C
	s_mul_i32 s60, s60, s61                                    // 000000002B4C: 923C3D3C
	s_mov_b32 s34, s60                                         // 000000002B50: BEA2003C
	s_mov_b32 s23, 0x20000                                     // 000000002B54: BE9700FF 00020000
	s_mov_b32 s27, 0x20000                                     // 000000002B5C: BE9B00FF 00020000
	s_mov_b32 s31, 0x20000                                     // 000000002B64: BE9F00FF 00020000
	s_mov_b32 s35, 0x20000                                     // 000000002B6C: BEA300FF 00020000
	s_mov_b32 s15, 0x20000                                     // 000000002B74: BE8F00FF 00020000
	s_mov_b32 s39, 0x20000                                     // 000000002B7C: BEA700FF 00020000
	s_mov_b32 s11, 0x20000                                     // 000000002B84: BE8B00FF 00020000
	s_and_b32 s21, s21, 0xffff                                 // 000000002B8C: 8615FF15 0000FFFF
	s_and_b32 s25, s25, 0xffff                                 // 000000002B94: 8619FF19 0000FFFF
	s_and_b32 s29, s29, 0xffff                                 // 000000002B9C: 861DFF1D 0000FFFF
	s_and_b32 s33, s33, 0xffff                                 // 000000002BA4: 8621FF21 0000FFFF
	s_and_b32 s13, s13, 0xffff                                 // 000000002BAC: 860DFF0D 0000FFFF
	s_and_b32 s37, s37, 0xffff                                 // 000000002BB4: 8625FF25 0000FFFF
	s_or_b32 s21, s21, 0x40000                                 // 000000002BBC: 8715FF15 00040000
	s_or_b32 s25, s25, 0x40000                                 // 000000002BC4: 8719FF19 00040000
	s_or_b32 s29, s29, 0x40000                                 // 000000002BCC: 871DFF1D 00040000
	s_or_b32 s33, s33, 0x40000                                 // 000000002BD4: 8721FF21 00040000
	s_or_b32 s13, s13, 0x40000                                 // 000000002BDC: 870DFF0D 00040000
	s_or_b32 s37, s37, 0x40000                                 // 000000002BE4: 8725FF25 00040000
	v_accvgpr_write_b32 a127, 0                                // 000000002BEC: D3D9407F 18000080
	v_mov_b32_e32 v143, 0                                      // 000000002BF4: 7F1E0280
	s_waitcnt lgkmcnt(0)                                       // 000000002BF8: BF8CC07F
	s_mul_i32 s60, s3, 0x50                                    // 000000002BFC: 923CFF03 00000050
	s_cmp_lt_i32 s60, s48                                      // 000000002C04: BF04303C
	s_cbranch_scc0 label_3020                                  // 000000002C08: BF842F9A
	s_mov_b32 s80, 0                                           // 000000002C0C: BED00080
	s_lshr_b32 s81, s64, s88                                   // 000000002C10: 8F515840
	s_mul_i32 s60, s3, 4                                       // 000000002C14: 923C8403
	s_add_u32 s44, s60, s44                                    // 000000002C18: 802C2C3C
	s_addc_u32 s45, 0, s45                                     // 000000002C1C: 822D2D80
	s_load_dword s5, s[44:45], 0x0                             // 000000002C20: C0020156 00000000
	s_mul_i32 s60, s3, 0x50                                    // 000000002C28: 923CFF03 00000050
	s_mul_i32 s60, 4, s60                                      // 000000002C30: 923C3C84
	s_add_u32 s12, s60, s12                                    // 000000002C34: 800C0C3C
	s_addc_u32 s13, 0, s13                                     // 000000002C38: 820D0D80
	v_and_b32_e32 v4, 15, v0                                   // 000000002C3C: 2608008F
	v_lshlrev_b32_e32 v4, 2, v4                                // 000000002C40: 24080882
	buffer_load_dword v30, v4, s[12:15], 0 offen               // 000000002C44: E0501000 80031E04
	v_add_u32_e32 v4, 64, v4                                   // 000000002C4C: 680808C0
	buffer_load_dword v31, v4, s[12:15], 0 offen               // 000000002C50: E0501000 80031F04
	v_add_u32_e32 v4, 64, v4                                   // 000000002C58: 680808C0
	buffer_load_dword v32, v4, s[12:15], 0 offen               // 000000002C5C: E0501000 80032004
	v_add_u32_e32 v4, 64, v4                                   // 000000002C64: 680808C0
	buffer_load_dword v33, v4, s[12:15], 0 offen               // 000000002C68: E0501000 80032104
	v_add_u32_e32 v4, 64, v4                                   // 000000002C70: 680808C0
	buffer_load_dword v34, v4, s[12:15], 0 offen               // 000000002C74: E0501000 80032204
	v_add_u32_e32 v4, 64, v4                                   // 000000002C7C: 680808C0
	s_mul_i32 s60, 4, s7                                       // 000000002C80: 923C0784
	v_lshlrev_b32_e32 v4, 4, v0                                // 000000002C84: 24080084
	v_add_u32_e32 v4, s60, v4                                  // 000000002C88: 6808083C
	buffer_load_dword v3, v4, s[12:15], 0 offen                // 000000002C8C: E0501000 80030304
	v_mov_b32_e32 v64, 0                                       // 000000002C94: 7E800280
	v_mov_b32_e32 v104, 0                                      // 000000002C98: 7ED00280
	v_mov_b32_e32 v65, 0                                       // 000000002C9C: 7E820280
	v_mov_b32_e32 v105, 0                                      // 000000002CA0: 7ED20280
	v_mov_b32_e32 v66, 0                                       // 000000002CA4: 7E840280
	v_mov_b32_e32 v106, 0                                      // 000000002CA8: 7ED40280
	v_mov_b32_e32 v67, 0                                       // 000000002CAC: 7E860280
	v_mov_b32_e32 v107, 0                                      // 000000002CB0: 7ED60280
	v_mov_b32_e32 v68, 0                                       // 000000002CB4: 7E880280
	v_mov_b32_e32 v108, 0                                      // 000000002CB8: 7ED80280
	v_mov_b32_e32 v69, 0                                       // 000000002CBC: 7E8A0280
	v_mov_b32_e32 v109, 0                                      // 000000002CC0: 7EDA0280
	v_mov_b32_e32 v70, 0                                       // 000000002CC4: 7E8C0280
	v_mov_b32_e32 v110, 0                                      // 000000002CC8: 7EDC0280
	v_mov_b32_e32 v71, 0                                       // 000000002CCC: 7E8E0280
	v_mov_b32_e32 v111, 0                                      // 000000002CD0: 7EDE0280
	v_mov_b32_e32 v72, 0                                       // 000000002CD4: 7E900280
	v_mov_b32_e32 v112, 0                                      // 000000002CD8: 7EE00280
	v_mov_b32_e32 v73, 0                                       // 000000002CDC: 7E920280
	v_mov_b32_e32 v113, 0                                      // 000000002CE0: 7EE20280
	v_mov_b32_e32 v74, 0                                       // 000000002CE4: 7E940280
	v_mov_b32_e32 v114, 0                                      // 000000002CE8: 7EE40280
	v_mov_b32_e32 v75, 0                                       // 000000002CEC: 7E960280
	v_mov_b32_e32 v115, 0                                      // 000000002CF0: 7EE60280
	v_mov_b32_e32 v76, 0                                       // 000000002CF4: 7E980280
	v_mov_b32_e32 v116, 0                                      // 000000002CF8: 7EE80280
	v_mov_b32_e32 v77, 0                                       // 000000002CFC: 7E9A0280
	v_mov_b32_e32 v117, 0                                      // 000000002D00: 7EEA0280
	v_mov_b32_e32 v78, 0                                       // 000000002D04: 7E9C0280
	v_mov_b32_e32 v118, 0                                      // 000000002D08: 7EEC0280
	v_mov_b32_e32 v79, 0                                       // 000000002D0C: 7E9E0280
	v_mov_b32_e32 v119, 0                                      // 000000002D10: 7EEE0280
	v_mov_b32_e32 v80, 0                                       // 000000002D14: 7EA00280
	v_mov_b32_e32 v120, 0                                      // 000000002D18: 7EF00280
	v_mov_b32_e32 v81, 0                                       // 000000002D1C: 7EA20280
	v_mov_b32_e32 v121, 0                                      // 000000002D20: 7EF20280
	v_mov_b32_e32 v82, 0                                       // 000000002D24: 7EA40280
	v_mov_b32_e32 v122, 0                                      // 000000002D28: 7EF40280
	v_mov_b32_e32 v83, 0                                       // 000000002D2C: 7EA60280
	v_mov_b32_e32 v123, 0                                      // 000000002D30: 7EF60280
	v_mov_b32_e32 v84, 0                                       // 000000002D34: 7EA80280
	v_mov_b32_e32 v124, 0                                      // 000000002D38: 7EF80280
	v_mov_b32_e32 v85, 0                                       // 000000002D3C: 7EAA0280
	v_mov_b32_e32 v125, 0                                      // 000000002D40: 7EFA0280
	v_mov_b32_e32 v86, 0                                       // 000000002D44: 7EAC0280
	v_mov_b32_e32 v126, 0                                      // 000000002D48: 7EFC0280
	v_mov_b32_e32 v87, 0                                       // 000000002D4C: 7EAE0280
	v_mov_b32_e32 v127, 0                                      // 000000002D50: 7EFE0280
	v_mov_b32_e32 v88, 0                                       // 000000002D54: 7EB00280
	v_mov_b32_e32 v128, 0                                      // 000000002D58: 7F000280
	v_mov_b32_e32 v89, 0                                       // 000000002D5C: 7EB20280
	v_mov_b32_e32 v129, 0                                      // 000000002D60: 7F020280
	v_mov_b32_e32 v90, 0                                       // 000000002D64: 7EB40280
	v_mov_b32_e32 v130, 0                                      // 000000002D68: 7F040280
	v_mov_b32_e32 v91, 0                                       // 000000002D6C: 7EB60280
	v_mov_b32_e32 v131, 0                                      // 000000002D70: 7F060280
	v_mov_b32_e32 v92, 0                                       // 000000002D74: 7EB80280
	v_mov_b32_e32 v132, 0                                      // 000000002D78: 7F080280
	v_mov_b32_e32 v93, 0                                       // 000000002D7C: 7EBA0280
	v_mov_b32_e32 v133, 0                                      // 000000002D80: 7F0A0280
	v_mov_b32_e32 v94, 0                                       // 000000002D84: 7EBC0280
	v_mov_b32_e32 v134, 0                                      // 000000002D88: 7F0C0280
	v_mov_b32_e32 v95, 0                                       // 000000002D8C: 7EBE0280
	v_mov_b32_e32 v135, 0                                      // 000000002D90: 7F0E0280
	v_mov_b32_e32 v96, 0                                       // 000000002D94: 7EC00280
	v_mov_b32_e32 v136, 0                                      // 000000002D98: 7F100280
	v_mov_b32_e32 v97, 0                                       // 000000002D9C: 7EC20280
	v_mov_b32_e32 v137, 0                                      // 000000002DA0: 7F120280
	v_mov_b32_e32 v98, 0                                       // 000000002DA4: 7EC40280
	v_mov_b32_e32 v138, 0                                      // 000000002DA8: 7F140280
	v_mov_b32_e32 v99, 0                                       // 000000002DAC: 7EC60280
	v_mov_b32_e32 v139, 0                                      // 000000002DB0: 7F160280
	v_mov_b32_e32 v100, 0                                      // 000000002DB4: 7EC80280
	v_mov_b32_e32 v140, 0                                      // 000000002DB8: 7F180280
	v_mov_b32_e32 v101, 0                                      // 000000002DBC: 7ECA0280
	v_mov_b32_e32 v141, 0                                      // 000000002DC0: 7F1A0280
	v_mov_b32_e32 v102, 0                                      // 000000002DC4: 7ECC0280
	v_mov_b32_e32 v142, 0                                      // 000000002DC8: 7F1C0280
	v_mov_b32_e32 v103, 0                                      // 000000002DCC: 7ECE0280
	v_mov_b32_e32 v143, 0                                      // 000000002DD0: 7F1E0280
	s_mul_i32 s60, s2, 0x80                                    // 000000002DD4: 923CFF02 00000080
	s_cmp_eq_u32 s88, 0                                        // 000000002DDC: BF068058
	s_cselect_b32 s61, 1, 4                                    // 000000002DE0: 853D8481
	s_mul_i32 s60, s60, s61                                    // 000000002DE4: 923C3D3C
	s_mov_b32 s90, s8                                          // 000000002DE8: BEDA0008
	s_mov_b32 s91, s9                                          // 000000002DEC: BEDB0009
	s_add_u32 s8, s60, s8                                      // 000000002DF0: 8008083C
	s_addc_u32 s9, 0, s9                                       // 000000002DF4: 82090980
	v_lshrrev_b32_e32 v4, 4, v0                                // 000000002DF8: 20080084
	v_mul_lo_u32 v20, 34, v4                                   // 000000002DFC: D2850014 000208A2
	v_and_b32_e32 v4, 15, v0                                   // 000000002E04: 2608008F
	v_mul_lo_u32 v5, 2, v4                                     // 000000002E08: D2850005 00020882
	v_add_u32_e32 v20, v5, v20                                 // 000000002E10: 68282905
	s_mul_i32 s60, s7, 0x88                                    // 000000002E14: 923CFF07 00000088
	v_add_u32_e32 v20, s60, v20                                // 000000002E1C: 6828283C
	v_lshlrev_b32_e32 v20, 2, v20                              // 000000002E20: 24282882
	v_and_b32_e32 v4, 31, v0                                   // 000000002E24: 2608009F
	v_lshrrev_b32_e32 v4, 1, v4                                // 000000002E28: 20080881
	v_mul_lo_u32 v21, 34, v4                                   // 000000002E2C: D2850015 000208A2
	v_lshrrev_b32_e32 v4, 5, v0                                // 000000002E34: 20080085
	v_mul_lo_u32 v4, 8, v4                                     // 000000002E38: D2850004 00020888
	v_add_u32_e32 v21, v21, v4                                 // 000000002E40: 682A0915
	v_and_b32_e32 v5, 1, v0                                    // 000000002E44: 260A0081
	v_add_u32_e32 v21, v5, v21                                 // 000000002E48: 682A2B05
	s_mul_i32 s60, s7, 2                                       // 000000002E4C: 923C8207
	v_add_u32_e32 v21, s60, v21                                // 000000002E50: 682A2A3C
	v_lshlrev_b32_e32 v21, 2, v21                              // 000000002E54: 242A2A82
	s_mul_i32 s60, s7, 0xa20                                   // 000000002E58: 923CFF07 00000A20
	s_add_u32 s48, 0, s60                                      // 000000002E60: 80303C80
	s_add_u32 s49, 0x2880, s48                                 // 000000002E64: 803130FF 00002880
	s_add_u32 s50, 0x2880, s49                                 // 000000002E6C: 803231FF 00002880
	v_lshrrev_b32_e32 v4, 4, v0                                // 000000002E74: 20080084
	v_lshlrev_b32_e32 v5, 2, v4                                // 000000002E78: 240A0882
	v_and_b32_e32 v4, 15, v0                                   // 000000002E7C: 2608008F
	v_lshrrev_b32_e32 v6, 2, v4                                // 000000002E80: 200C0882
	v_lshlrev_b32_e32 v6, 5, v6                                // 000000002E84: 240C0C85
	v_add_u32_e32 v5, v6, v5                                   // 000000002E88: 680A0B06
	v_and_b32_e32 v4, 3, v0                                    // 000000002E8C: 26080083
	v_mul_u32_u24_e32 v6, 0x288, v4                            // 000000002E90: 100C08FF 00000288
	v_add_u32_e32 v5, v6, v5                                   // 000000002E98: 680A0B06
	v_lshlrev_b32_e32 v2, 2, v5                                // 000000002E9C: 24040A82
	s_waitcnt lgkmcnt(0)                                       // 000000002EA0: BF8CC07F
	s_mul_i32 s60, s2, 0x80                                    // 000000002EA4: 923CFF02 00000080
	s_mul_i32 s60, s60, s69                                    // 000000002EAC: 923C453C
	s_mul_i32 s61, s5, s72                                     // 000000002EB0: 923D4805
	s_add_u32 s60, s61, s60                                    // 000000002EB4: 803C3C3D
	s_add_u32 s24, s60, s24                                    // 000000002EB8: 8018183C
	s_addc_u32 s25, 0, s25                                     // 000000002EBC: 82191980
	s_lshr_b32 s60, s64, s88                                   // 000000002EC0: 8F3C5840
	s_mul_i32 s60, s4, s60                                     // 000000002EC4: 923C3C04
	s_lshr_b32 s60, s60, 7                                     // 000000002EC8: 8F3C873C
	s_mul_i32 s60, s60, 0x800                                  // 000000002ECC: 923CFF3C 00000800
	s_add_u32 s24, s60, s24                                    // 000000002ED4: 8018183C
	s_addc_u32 s25, 0, s25                                     // 000000002ED8: 82191980
	s_lshr_b32 s60, s69, s88                                   // 000000002EDC: 8F3C5845
	s_mul_i32 s60, s4, s60                                     // 000000002EE0: 923C3C04
	s_add_u32 s20, s60, s20                                    // 000000002EE4: 8014143C
	s_addc_u32 s21, 0, s21                                     // 000000002EE8: 82151580
	s_mul_i32 s60, s7, 16                                      // 000000002EEC: 923C9007
	s_mul_i32 s60, s60, s69                                    // 000000002EF0: 923C453C
	v_lshlrev_b32_e32 v60, 4, v0                               // 000000002EF4: 24780084
	v_add_u32_e32 v60, s60, v60                                // 000000002EF8: 6878783C
	s_mul_i32 s60, 64, s69                                     // 000000002EFC: 923C45C0
	v_add_u32_e32 v61, s60, v60                                // 000000002F00: 687A783C
	s_mov_b32 s84, s24                                         // 000000002F04: BED40018
	s_mov_b32 s85, s25                                         // 000000002F08: BED50019
	s_mov_b32 s86, s26                                         // 000000002F0C: BED6001A
	s_mov_b32 s87, s27                                         // 000000002F10: BED7001B
	s_mul_i32 s60, s69, s65                                    // 000000002F14: 923C4145
	s_add_u32 s84, s60, s84                                    // 000000002F18: 8054543C
	s_addc_u32 s85, 0, s85                                     // 000000002F1C: 82555580
	s_lshr_b32 s60, s64, 7                                     // 000000002F20: 8F3C8740
	s_mul_i32 s61, s60, 4                                      // 000000002F24: 923D843C
	v_and_b32_e32 v22, 15, v0                                  // 000000002F28: 262C008F
	v_mul_lo_u32 v22, v22, s61                                 // 000000002F2C: D2850016 00007B16
	s_lshr_b32 s60, s65, 7                                     // 000000002F34: 8F3C8741
	s_mul_i32 s60, s60, s61                                    // 000000002F38: 923C3D3C
	v_add_u32_e64 v23, v22, s60                                // 000000002F3C: D1340017 00007916
	s_mul_i32 s60, s2, 1                                       // 000000002F44: 923C8102
	s_mul_i32 s60, s60, s61                                    // 000000002F48: 923C3D3C
	s_mul_i32 s61, s5, s74                                     // 000000002F4C: 923D4A05
	s_add_u32 s61, s61, s60                                    // 000000002F50: 803D3C3D
	s_add_u32 s32, s61, s32                                    // 000000002F54: 8020203D
	s_addc_u32 s33, 0, s33                                     // 000000002F58: 82212180
	s_lshr_b32 s60, s64, 7                                     // 000000002F5C: 8F3C8740
	s_lshr_b32 s60, s60, s88                                   // 000000002F60: 8F3C583C
	s_mul_i32 s60, s4, s60                                     // 000000002F64: 923C3C04
	s_mul_i32 s61, s60, 4                                      // 000000002F68: 923D843C
	s_add_u32 s32, s61, s32                                    // 000000002F6C: 8020203D
	s_addc_u32 s33, 0, s33                                     // 000000002F70: 82212180
	s_lshl_b32 s62, s66, 2                                     // 000000002F74: 8E3E8242
	s_mul_i32 s62, s60, s62                                    // 000000002F78: 923E3E3C
	s_add_u32 s28, s62, s28                                    // 000000002F7C: 801C1C3E
	s_addc_u32 s29, 0, s29                                     // 000000002F80: 821D1D80
	s_mov_b32 s4, 4                                            // 000000002F84: BE840084
	s_mov_b32 s57, 0x80                                        // 000000002F88: BEB900FF 00000080
	s_mov_b32 s58, 0x800                                       // 000000002F90: BEBA00FF 00000800
	s_mov_b32 s83, s58                                         // 000000002F98: BED3003A
	s_mov_b32 s52, 0x7060302                                   // 000000002F9C: BEB400FF 07060302
	s_mov_b32 s53, 0x400                                       // 000000002FA4: BEB500FF 00000400
	s_mov_b32 s54, 0x40100                                     // 000000002FAC: BEB600FF 00040100
	s_mov_b32 s55, 0x4020100                                   // 000000002FB4: BEB700FF 04020100
	s_mov_b32 s6, 0x3fb8aa3b                                   // 000000002FBC: BE8600FF 3FB8AA3B
	s_mov_b32 s78, 0xbd92220c                                  // 000000002FC4: BECE00FF BD92220C
	s_mov_b32 s79, 0xbd92220c                                  // 000000002FCC: BECF00FF BD92220C
	s_mov_b32 m0, s48                                          // 000000002FD4: BEFC0030
	v_mov_b32_e32 v1, 0xbfcc4231                               // 000000002FD8: 7E0202FF BFCC4231
	v_mov_b32_e32 v17, 0xffff0000                              // 000000002FE0: 7E2202FF FFFF0000
	v_mov_b32_e32 v18, 0x7fff0000                              // 000000002FE8: 7E2402FF 7FFF0000
	v_mov_b32_e32 v19, 0x7fff                                  // 000000002FF0: 7E2602FF 00007FFF
	s_waitcnt vmcnt(0) expcnt(0) lgkmcnt(0)                    // 000000002FF8: BF8C0000
	v_lshrrev_b32_e32 v4, 5, v0                                // 000000002FFC: 20080085
	v_xor_b32_e32 v5, 1, v4                                    // 000000003000: 2A0A0881
	v_readlane_b32 s82, v3, 0                                  // 000000003004: D2890052 00010103
	s_and_b32 s82, s82, 0xffffff                               // 00000000300C: 8652FF52 00FFFFFF
	v_mul_lo_u32 v6, v5, s82                                   // 000000003014: D2850006 0000A505
	v_readlane_b32 s82, v3, 1                                  // 00000000301C: D2890052 00010303
	s_and_b32 s82, s82, 0xffffff                               // 000000003024: 8652FF52 00FFFFFF
	v_mul_lo_u32 v7, v4, s82                                   // 00000000302C: D2850007 0000A504
	v_add_u32_e32 v50, v6, v7                                  // 000000003034: 68640F06
	v_mul_lo_u32 v50, v50, s68                                 // 000000003038: D2850032 00008932
	v_readlane_b32 s82, v3, 2                                  // 000000003040: D2890052 00010503
	s_and_b32 s82, s82, 0xffffff                               // 000000003048: 8652FF52 00FFFFFF
	v_mul_lo_u32 v6, v5, s82                                   // 000000003050: D2850006 0000A505
	v_readlane_b32 s82, v3, 3                                  // 000000003058: D2890052 00010703
	s_and_b32 s82, s82, 0xffffff                               // 000000003060: 8652FF52 00FFFFFF
	v_mul_lo_u32 v7, v4, s82                                   // 000000003068: D2850007 0000A504
	v_add_u32_e32 v51, v6, v7                                  // 000000003070: 68660F06
	v_mul_lo_u32 v51, v51, s68                                 // 000000003074: D2850033 00008933
	v_readlane_b32 s82, v3, 4                                  // 00000000307C: D2890052 00010903
	s_and_b32 s82, s82, 0xffffff                               // 000000003084: 8652FF52 00FFFFFF
	v_mul_lo_u32 v6, v5, s82                                   // 00000000308C: D2850006 0000A505
	v_readlane_b32 s82, v3, 5                                  // 000000003094: D2890052 00010B03
	s_and_b32 s82, s82, 0xffffff                               // 00000000309C: 8652FF52 00FFFFFF
	v_mul_lo_u32 v7, v4, s82                                   // 0000000030A4: D2850007 0000A504
	v_add_u32_e32 v52, v6, v7                                  // 0000000030AC: 68680F06
	v_mul_lo_u32 v52, v52, s68                                 // 0000000030B0: D2850034 00008934
	v_readlane_b32 s82, v3, 6                                  // 0000000030B8: D2890052 00010D03
	s_and_b32 s82, s82, 0xffffff                               // 0000000030C0: 8652FF52 00FFFFFF
	v_mul_lo_u32 v6, v5, s82                                   // 0000000030C8: D2850006 0000A505
	v_readlane_b32 s82, v3, 7                                  // 0000000030D0: D2890052 00010F03
	s_and_b32 s82, s82, 0xffffff                               // 0000000030D8: 8652FF52 00FFFFFF
	v_mul_lo_u32 v7, v4, s82                                   // 0000000030E0: D2850007 0000A504
	v_add_u32_e32 v53, v6, v7                                  // 0000000030E8: 686A0F06
	v_mul_lo_u32 v53, v53, s68                                 // 0000000030EC: D2850035 00008935
	v_readlane_b32 s82, v3, 8                                  // 0000000030F4: D2890052 00011103
	s_and_b32 s82, s82, 0xffffff                               // 0000000030FC: 8652FF52 00FFFFFF
	v_mul_lo_u32 v6, v5, s82                                   // 000000003104: D2850006 0000A505
	v_readlane_b32 s82, v3, 9                                  // 00000000310C: D2890052 00011303
	s_and_b32 s82, s82, 0xffffff                               // 000000003114: 8652FF52 00FFFFFF
	v_mul_lo_u32 v7, v4, s82                                   // 00000000311C: D2850007 0000A504
	v_add_u32_e32 v54, v6, v7                                  // 000000003124: 686C0F06
	v_mul_lo_u32 v54, v54, s68                                 // 000000003128: D2850036 00008936
	v_readlane_b32 s82, v3, 10                                 // 000000003130: D2890052 00011503
	s_and_b32 s82, s82, 0xffffff                               // 000000003138: 8652FF52 00FFFFFF
	v_mul_lo_u32 v6, v5, s82                                   // 000000003140: D2850006 0000A505
	v_readlane_b32 s82, v3, 11                                 // 000000003148: D2890052 00011703
	s_and_b32 s82, s82, 0xffffff                               // 000000003150: 8652FF52 00FFFFFF
	v_mul_lo_u32 v7, v4, s82                                   // 000000003158: D2850007 0000A504
	v_add_u32_e32 v55, v6, v7                                  // 000000003160: 686E0F06
	v_mul_lo_u32 v55, v55, s68                                 // 000000003164: D2850037 00008937
	v_readlane_b32 s82, v3, 12                                 // 00000000316C: D2890052 00011903
	s_and_b32 s82, s82, 0xffffff                               // 000000003174: 8652FF52 00FFFFFF
	v_mul_lo_u32 v6, v5, s82                                   // 00000000317C: D2850006 0000A505
	v_readlane_b32 s82, v3, 13                                 // 000000003184: D2890052 00011B03
	s_and_b32 s82, s82, 0xffffff                               // 00000000318C: 8652FF52 00FFFFFF
	v_mul_lo_u32 v7, v4, s82                                   // 000000003194: D2850007 0000A504
	v_add_u32_e32 v56, v6, v7                                  // 00000000319C: 68700F06
	v_mul_lo_u32 v56, v56, s68                                 // 0000000031A0: D2850038 00008938
	v_readlane_b32 s82, v3, 14                                 // 0000000031A8: D2890052 00011D03
	s_and_b32 s82, s82, 0xffffff                               // 0000000031B0: 8652FF52 00FFFFFF
	v_mul_lo_u32 v6, v5, s82                                   // 0000000031B8: D2850006 0000A505
	v_readlane_b32 s82, v3, 15                                 // 0000000031C0: D2890052 00011F03
	s_and_b32 s82, s82, 0xffffff                               // 0000000031C8: 8652FF52 00FFFFFF
	v_mul_lo_u32 v7, v4, s82                                   // 0000000031D0: D2850007 0000A504
	v_add_u32_e32 v57, v6, v7                                  // 0000000031D8: 68720F06
	v_mul_lo_u32 v57, v57, s68                                 // 0000000031DC: D2850039 00008939
	v_readlane_b32 s82, v3, 16                                 // 0000000031E4: D2890052 00012103
	s_and_b32 s82, s82, 0xffffff                               // 0000000031EC: 8652FF52 00FFFFFF
	v_mul_lo_u32 v6, v5, s82                                   // 0000000031F4: D2850006 0000A505
	v_readlane_b32 s82, v3, 17                                 // 0000000031FC: D2890052 00012303
	s_and_b32 s82, s82, 0xffffff                               // 000000003204: 8652FF52 00FFFFFF
	v_mul_lo_u32 v7, v4, s82                                   // 00000000320C: D2850007 0000A504
	v_add_u32_e32 v58, v6, v7                                  // 000000003214: 68740F06
	v_mul_lo_u32 v58, v58, s68                                 // 000000003218: D285003A 0000893A
	v_readlane_b32 s82, v3, 18                                 // 000000003220: D2890052 00012503
	s_and_b32 s82, s82, 0xffffff                               // 000000003228: 8652FF52 00FFFFFF
	v_mul_lo_u32 v6, v5, s82                                   // 000000003230: D2850006 0000A505
	v_readlane_b32 s82, v3, 19                                 // 000000003238: D2890052 00012703
	s_and_b32 s82, s82, 0xffffff                               // 000000003240: 8652FF52 00FFFFFF
	v_mul_lo_u32 v7, v4, s82                                   // 000000003248: D2850007 0000A504
	v_add_u32_e32 v59, v6, v7                                  // 000000003250: 68760F06
	v_mul_lo_u32 v59, v59, s68                                 // 000000003254: D285003B 0000893B
	v_and_b32_e32 v4, 31, v0                                   // 00000000325C: 2608009F
	v_lshlrev_b32_e32 v4, 2, v4                                // 000000003260: 24080882
	v_add_u32_e32 v50, v50, v4                                 // 000000003264: 68640932
	v_add_u32_e32 v51, v51, v4                                 // 000000003268: 68660933
	v_add_u32_e32 v52, v52, v4                                 // 00000000326C: 68680934
	v_add_u32_e32 v53, v53, v4                                 // 000000003270: 686A0935
	v_add_u32_e32 v54, v54, v4                                 // 000000003274: 686C0936
	v_add_u32_e32 v55, v55, v4                                 // 000000003278: 686E0937
	v_add_u32_e32 v56, v56, v4                                 // 00000000327C: 68700938
	v_add_u32_e32 v57, v57, v4                                 // 000000003280: 68720939
	v_add_u32_e32 v58, v58, v4                                 // 000000003284: 6874093A
	v_add_u32_e32 v59, v59, v4                                 // 000000003288: 6876093B
	v_and_b32_e32 v30, 0xffffff, v30                           // 00000000328C: 263C3CFF 00FFFFFF
	v_lshlrev_b32_e32 v30, 2, v30                              // 000000003294: 243C3C82
	v_and_b32_e32 v31, 0xffffff, v31                           // 000000003298: 263E3EFF 00FFFFFF
	v_lshlrev_b32_e32 v31, 2, v31                              // 0000000032A0: 243E3E82
	v_and_b32_e32 v32, 0xffffff, v32                           // 0000000032A4: 264040FF 00FFFFFF
	v_lshlrev_b32_e32 v32, 2, v32                              // 0000000032AC: 24404082
	v_and_b32_e32 v33, 0xffffff, v33                           // 0000000032B0: 264242FF 00FFFFFF
	v_lshlrev_b32_e32 v33, 2, v33                              // 0000000032B8: 24424282
	v_and_b32_e32 v34, 0xffffff, v34                           // 0000000032BC: 264444FF 00FFFFFF
	v_lshlrev_b32_e32 v34, 2, v34                              // 0000000032C4: 24444482
	s_lshl_b32 s3, s66, 2                                      // 0000000032C8: 8E038242
	buffer_load_dword v50, s[20:23], 0 offen lds               // 0000000032CC: E0511000 80050032
	s_add_u32 m0, 0x100, s48                                   // 0000000032D4: 807C30FF 00000100
	buffer_load_dword v51, s[20:23], 0 offen lds               // 0000000032DC: E0511000 80050033
	s_add_u32 m0, 0x200, s48                                   // 0000000032E4: 807C30FF 00000200
	buffer_load_dword v52, s[20:23], 0 offen lds               // 0000000032EC: E0511000 80050034
	s_add_u32 m0, 0x300, s48                                   // 0000000032F4: 807C30FF 00000300
	buffer_load_dword v53, s[20:23], 0 offen lds               // 0000000032FC: E0511000 80050035
	s_add_u32 m0, 0x400, s48                                   // 000000003304: 807C30FF 00000400
	buffer_load_dword v54, s[20:23], 0 offen lds               // 00000000330C: E0511000 80050036
	s_add_u32 m0, 0x500, s48                                   // 000000003314: 807C30FF 00000500
	buffer_load_dword v55, s[20:23], 0 offen lds               // 00000000331C: E0511000 80050037
	s_add_u32 m0, 0x600, s48                                   // 000000003324: 807C30FF 00000600
	buffer_load_dword v56, s[20:23], 0 offen lds               // 00000000332C: E0511000 80050038
	s_add_u32 m0, 0x700, s48                                   // 000000003334: 807C30FF 00000700
	buffer_load_dword v57, s[20:23], 0 offen lds               // 00000000333C: E0511000 80050039
	s_add_u32 m0, 0x800, s48                                   // 000000003344: 807C30FF 00000800
	buffer_load_dword v58, s[20:23], 0 offen lds               // 00000000334C: E0511000 8005003A
	s_add_u32 m0, 0x900, s48                                   // 000000003354: 807C30FF 00000900
	buffer_load_dword v59, s[20:23], 0 offen lds               // 00000000335C: E0511000 8005003B
	s_add_u32 m0, 0, s49                                       // 000000003364: 807C3180
	s_add_u32 s20, s57, s20                                    // 000000003368: 80141439
	s_addc_u32 s21, 0, s21                                     // 00000000336C: 82151580
	buffer_load_dword v35, v30, s[28:31], 0 offen              // 000000003370: E0501000 8007231E
	buffer_load_dword v36, v31, s[28:31], 0 offen              // 000000003378: E0501000 8007241F
	buffer_load_dword v37, v32, s[28:31], 0 offen              // 000000003380: E0501000 80072520
	buffer_load_dword v38, v33, s[28:31], 0 offen              // 000000003388: E0501000 80072621
	;; [unrolled: 1-line block ×3, first 2 shown]
	s_add_u32 s28, s3, s28                                     // 000000003398: 801C1C03
	s_addc_u32 s29, 0, s29                                     // 00000000339C: 821D1D80
	buffer_load_dwordx4 a[80:83], v60, s[24:27], 0 offen       // 0000000033A0: E05C1000 8086503C
	buffer_load_dwordx4 a[84:87], v60, s[24:27], 0 offen offset:1024// 0000000033A8: E05C1400 8086543C
	buffer_load_dwordx4 a[88:91], v61, s[24:27], 0 offen       // 0000000033B0: E05C1000 8086583D
	buffer_load_dwordx4 a[92:95], v61, s[24:27], 0 offen offset:1024// 0000000033B8: E05C1400 80865C3D
	s_add_u32 s24, s58, s24                                    // 0000000033C0: 8018183A
	s_addc_u32 s25, 0, s25                                     // 0000000033C4: 82191980
	buffer_load_dword v24, v22, s[32:35], 0 offen              // 0000000033C8: E0501000 80081816
	buffer_load_dword v50, s[20:23], 0 offen lds               // 0000000033D0: E0511000 80050032
	s_add_u32 m0, 0x100, s49                                   // 0000000033D8: 807C31FF 00000100
	buffer_load_dword v51, s[20:23], 0 offen lds               // 0000000033E0: E0511000 80050033
	s_add_u32 m0, 0x200, s49                                   // 0000000033E8: 807C31FF 00000200
	buffer_load_dword v52, s[20:23], 0 offen lds               // 0000000033F0: E0511000 80050034
	s_add_u32 m0, 0x300, s49                                   // 0000000033F8: 807C31FF 00000300
	buffer_load_dword v53, s[20:23], 0 offen lds               // 000000003400: E0511000 80050035
	s_add_u32 m0, 0x400, s49                                   // 000000003408: 807C31FF 00000400
	buffer_load_dword v54, s[20:23], 0 offen lds               // 000000003410: E0511000 80050036
	s_add_u32 m0, 0x500, s49                                   // 000000003418: 807C31FF 00000500
	;; [unrolled: 2-line block ×5, first 2 shown]
	buffer_load_dword v58, s[20:23], 0 offen lds               // 000000003450: E0511000 8005003A
	s_add_u32 m0, 0x900, s49                                   // 000000003458: 807C31FF 00000900
	buffer_load_dword v59, s[20:23], 0 offen lds               // 000000003460: E0511000 8005003B
	s_add_u32 m0, 0, s50                                       // 000000003468: 807C3280
	s_add_u32 s20, s57, s20                                    // 00000000346C: 80141439
	s_addc_u32 s21, 0, s21                                     // 000000003470: 82151580
	buffer_load_dword v40, v30, s[28:31], 0 offen              // 000000003474: E0501000 8007281E
	buffer_load_dword v41, v31, s[28:31], 0 offen              // 00000000347C: E0501000 8007291F
	buffer_load_dword v42, v32, s[28:31], 0 offen              // 000000003484: E0501000 80072A20
	buffer_load_dword v43, v33, s[28:31], 0 offen              // 00000000348C: E0501000 80072B21
	buffer_load_dword v44, v34, s[28:31], 0 offen              // 000000003494: E0501000 80072C22
	s_add_u32 s28, s3, s28                                     // 00000000349C: 801C1C03
	s_addc_u32 s29, 0, s29                                     // 0000000034A0: 821D1D80
	buffer_load_dwordx4 a[96:99], v60, s[84:87], 0 offen       // 0000000034A4: E05C1000 8095603C
	buffer_load_dwordx4 a[100:103], v60, s[84:87], 0 offen offset:1024// 0000000034AC: E05C1400 8095643C
	buffer_load_dwordx4 a[104:107], v61, s[84:87], 0 offen     // 0000000034B4: E05C1000 8095683D
	buffer_load_dwordx4 a[108:111], v61, s[84:87], 0 offen offset:1024// 0000000034BC: E05C1400 80956C3D
	s_add_u32 s84, s83, s84                                    // 0000000034C4: 80545453
	s_addc_u32 s85, 0, s85                                     // 0000000034C8: 82555580
	buffer_load_dword v27, v23, s[32:35], 0 offen              // 0000000034CC: E0501000 80081B17
	s_add_u32 s32, s4, s32                                     // 0000000034D4: 80202004
	s_addc_u32 s33, 0, s33                                     // 0000000034D8: 82212180
	s_waitcnt vmcnt(30)                                        // 0000000034DC: BF8C4F7E
	s_barrier                                                  // 0000000034E0: BF8A0000
	ds_read_b128 a[0:3], v2                                    // 0000000034E4: DBFE0000 00000002
	ds_read_b128 a[4:7], v2 offset:64                          // 0000000034EC: DBFE0040 04000002
	ds_read_b128 a[8:11], v2 offset:512                        // 0000000034F4: DBFE0200 08000002
	ds_read_b128 a[12:15], v2 offset:576                       // 0000000034FC: DBFE0240 0C000002
	ds_read_b128 a[16:19], v2 offset:1024                      // 000000003504: DBFE0400 10000002
	ds_read_b128 a[20:23], v2 offset:1088                      // 00000000350C: DBFE0440 14000002
	ds_read_b128 a[24:27], v2 offset:1536                      // 000000003514: DBFE0600 18000002
	ds_read_b128 a[28:31], v2 offset:1600                      // 00000000351C: DBFE0640 1C000002
	ds_read_b128 a[32:35], v2 offset:2048                      // 000000003524: DBFE0800 20000002
	ds_read_b128 a[36:39], v2 offset:2112                      // 00000000352C: DBFE0840 24000002
	s_cmp_lt_i32 s7, 2                                         // 000000003534: BF048207
	s_cbranch_scc0 label_1979                                  // 000000003538: BF8416A7

000000000000353c <label_02CF>:
	s_waitcnt vmcnt(20) lgkmcnt(0)                             // 00000000353C: BF8C4074
	v_mul_f32_dpp v4, v24, v35 row_newbcast:0 row_mask:0xf bank_mask:0xf// 000000003540: 0A0846FA FF015018
	v_mfma_f32_16x16x32_fp8_fp8 v[8:11], a[80:81], a[0:1], 0   // 000000003548: D3F30008 1A020150
	buffer_load_dword v25, v22, s[32:35], 0 offen              // 000000003550: E0501000 80081916
	v_mfma_f32_16x16x32_fp8_fp8 v[8:11], a[82:83], a[2:3], v[8:11]// 000000003558: D3F30008 1C220552
	buffer_load_dwordx4 a[112:115], v60, s[24:27], 0 offen     // 000000003560: E05C1000 8086703C
	v_mfma_f32_16x16x32_fp8_fp8 v[8:11], a[84:85], a[4:5], v[8:11]// 000000003568: D3F30008 1C220954
	v_mfma_f32_16x16x32_fp8_fp8 v[8:11], a[86:87], a[6:7], v[8:11]// 000000003570: D3F30008 1C220D56
	v_mfma_f32_16x16x32_fp8_fp8 v[12:15], a[88:89], a[0:1], 0  // 000000003578: D3F3000C 1A020158
	v_mfma_f32_16x16x32_fp8_fp8 v[12:15], a[90:91], a[2:3], v[12:15]// 000000003580: D3F3000C 1C32055A
	buffer_load_dwordx4 a[116:119], v60, s[24:27], 0 offen offset:1024// 000000003588: E05C1400 8086743C
	v_mfma_f32_16x16x32_fp8_fp8 v[12:15], a[92:93], a[4:5], v[12:15]// 000000003590: D3F3000C 1C32095C
	v_mfma_f32_16x16x32_fp8_fp8 v[12:15], a[94:95], a[6:7], v[12:15]// 000000003598: D3F3000C 1C320D5E
	v_fma_f32 v64, v8, v4, v64                                 // 0000000035A0: D1CB0040 05020908
	v_fma_f32 v65, v9, v4, v65                                 // 0000000035A8: D1CB0041 05060909
	v_fma_f32 v66, v10, v4, v66                                // 0000000035B0: D1CB0042 050A090A
	v_fma_f32 v67, v11, v4, v67                                // 0000000035B8: D1CB0043 050E090B
	v_mul_f32_dpp v6, v24, v36 row_newbcast:0 row_mask:0xf bank_mask:0xf// 0000000035C0: 0A0C48FA FF015018
	v_mfma_f32_16x16x32_fp8_fp8 v[8:11], a[80:81], a[8:9], 0   // 0000000035C8: D3F30008 1A021150
	v_mfma_f32_16x16x32_fp8_fp8 v[8:11], a[82:83], a[10:11], v[8:11]// 0000000035D0: D3F30008 1C221552
	buffer_load_dwordx4 a[120:123], v61, s[24:27], 0 offen     // 0000000035D8: E05C1000 8086783D
	v_mfma_f32_16x16x32_fp8_fp8 v[8:11], a[84:85], a[12:13], v[8:11]// 0000000035E0: D3F30008 1C221954
	v_mfma_f32_16x16x32_fp8_fp8 v[8:11], a[86:87], a[14:15], v[8:11]// 0000000035E8: D3F30008 1C221D56
	v_fma_f32 v84, v12, v4, v84                                // 0000000035F0: D1CB0054 0552090C
	v_fma_f32 v85, v13, v4, v85                                // 0000000035F8: D1CB0055 0556090D
	v_fma_f32 v86, v14, v4, v86                                // 000000003600: D1CB0056 055A090E
	v_fma_f32 v87, v15, v4, v87                                // 000000003608: D1CB0057 055E090F
	v_mfma_f32_16x16x32_fp8_fp8 v[12:15], a[88:89], a[8:9], 0  // 000000003610: D3F3000C 1A021158
	v_mfma_f32_16x16x32_fp8_fp8 v[12:15], a[90:91], a[10:11], v[12:15]// 000000003618: D3F3000C 1C32155A
	buffer_load_dwordx4 a[124:127], v61, s[24:27], 0 offen offset:1024// 000000003620: E05C1400 80867C3D
	buffer_load_dword v50, s[20:23], 0 offen lds               // 000000003628: E0511000 80050032
	s_add_u32 m0, 0x100, s50                                   // 000000003630: 807C32FF 00000100
	v_mfma_f32_16x16x32_fp8_fp8 v[12:15], a[92:93], a[12:13], v[12:15]// 000000003638: D3F3000C 1C32195C
	v_mfma_f32_16x16x32_fp8_fp8 v[12:15], a[94:95], a[14:15], v[12:15]// 000000003640: D3F3000C 1C321D5E
	buffer_load_dword v51, s[20:23], 0 offen lds               // 000000003648: E0511000 80050033
	s_add_u32 m0, 0x200, s50                                   // 000000003650: 807C32FF 00000200
	v_fma_f32 v68, v8, v6, v68                                 // 000000003658: D1CB0044 05120D08
	v_fma_f32 v69, v9, v6, v69                                 // 000000003660: D1CB0045 05160D09
	v_fma_f32 v70, v10, v6, v70                                // 000000003668: D1CB0046 051A0D0A
	v_fma_f32 v71, v11, v6, v71                                // 000000003670: D1CB0047 051E0D0B
	v_mul_f32_dpp v4, v24, v37 row_newbcast:0 row_mask:0xf bank_mask:0xf// 000000003678: 0A084AFA FF015018
	v_mfma_f32_16x16x32_fp8_fp8 v[8:11], a[80:81], a[16:17], 0 // 000000003680: D3F30008 1A022150
	v_mfma_f32_16x16x32_fp8_fp8 v[8:11], a[82:83], a[18:19], v[8:11]// 000000003688: D3F30008 1C222552
	buffer_load_dword v52, s[20:23], 0 offen lds               // 000000003690: E0511000 80050034
	s_add_u32 m0, 0x300, s50                                   // 000000003698: 807C32FF 00000300
	v_mfma_f32_16x16x32_fp8_fp8 v[8:11], a[84:85], a[20:21], v[8:11]// 0000000036A0: D3F30008 1C222954
	v_mfma_f32_16x16x32_fp8_fp8 v[8:11], a[86:87], a[22:23], v[8:11]// 0000000036A8: D3F30008 1C222D56
	buffer_load_dword v53, s[20:23], 0 offen lds               // 0000000036B0: E0511000 80050035
	s_add_u32 m0, 0x400, s50                                   // 0000000036B8: 807C32FF 00000400
	v_fma_f32 v88, v12, v6, v88                                // 0000000036C0: D1CB0058 05620D0C
	v_fma_f32 v89, v13, v6, v89                                // 0000000036C8: D1CB0059 05660D0D
	v_fma_f32 v90, v14, v6, v90                                // 0000000036D0: D1CB005A 056A0D0E
	v_fma_f32 v91, v15, v6, v91                                // 0000000036D8: D1CB005B 056E0D0F
	v_mfma_f32_16x16x32_fp8_fp8 v[12:15], a[88:89], a[16:17], 0// 0000000036E0: D3F3000C 1A022158
	v_mfma_f32_16x16x32_fp8_fp8 v[12:15], a[90:91], a[18:19], v[12:15]// 0000000036E8: D3F3000C 1C32255A
	buffer_load_dword v54, s[20:23], 0 offen lds               // 0000000036F0: E0511000 80050036
	s_add_u32 m0, 0x500, s50                                   // 0000000036F8: 807C32FF 00000500
	v_mfma_f32_16x16x32_fp8_fp8 v[12:15], a[92:93], a[20:21], v[12:15]// 000000003700: D3F3000C 1C32295C
	v_mfma_f32_16x16x32_fp8_fp8 v[12:15], a[94:95], a[22:23], v[12:15]// 000000003708: D3F3000C 1C322D5E
	buffer_load_dword v55, s[20:23], 0 offen lds               // 000000003710: E0511000 80050037
	s_add_u32 m0, 0x600, s50                                   // 000000003718: 807C32FF 00000600
	v_fma_f32 v72, v8, v4, v72                                 // 000000003720: D1CB0048 05220908
	v_fma_f32 v73, v9, v4, v73                                 // 000000003728: D1CB0049 05260909
	v_fma_f32 v74, v10, v4, v74                                // 000000003730: D1CB004A 052A090A
	v_fma_f32 v75, v11, v4, v75                                // 000000003738: D1CB004B 052E090B
	v_mul_f32_dpp v6, v24, v38 row_newbcast:0 row_mask:0xf bank_mask:0xf// 000000003740: 0A0C4CFA FF015018
	v_mfma_f32_16x16x32_fp8_fp8 v[8:11], a[80:81], a[24:25], 0 // 000000003748: D3F30008 1A023150
	v_mfma_f32_16x16x32_fp8_fp8 v[8:11], a[82:83], a[26:27], v[8:11]// 000000003750: D3F30008 1C223552
	buffer_load_dword v56, s[20:23], 0 offen lds               // 000000003758: E0511000 80050038
	s_add_u32 m0, 0x700, s50                                   // 000000003760: 807C32FF 00000700
	v_mfma_f32_16x16x32_fp8_fp8 v[8:11], a[84:85], a[28:29], v[8:11]// 000000003768: D3F30008 1C223954
	v_mfma_f32_16x16x32_fp8_fp8 v[8:11], a[86:87], a[30:31], v[8:11]// 000000003770: D3F30008 1C223D56
	buffer_load_dword v57, s[20:23], 0 offen lds               // 000000003778: E0511000 80050039
	s_add_u32 m0, 0x800, s50                                   // 000000003780: 807C32FF 00000800
	v_fma_f32 v92, v12, v4, v92                                // 000000003788: D1CB005C 0572090C
	v_fma_f32 v93, v13, v4, v93                                // 000000003790: D1CB005D 0576090D
	v_fma_f32 v94, v14, v4, v94                                // 000000003798: D1CB005E 057A090E
	v_fma_f32 v95, v15, v4, v95                                // 0000000037A0: D1CB005F 057E090F
	v_mfma_f32_16x16x32_fp8_fp8 v[12:15], a[88:89], a[24:25], 0// 0000000037A8: D3F3000C 1A023158
	v_mfma_f32_16x16x32_fp8_fp8 v[12:15], a[90:91], a[26:27], v[12:15]// 0000000037B0: D3F3000C 1C32355A
	buffer_load_dword v58, s[20:23], 0 offen lds               // 0000000037B8: E0511000 8005003A
	s_add_u32 m0, 0x900, s50                                   // 0000000037C0: 807C32FF 00000900
	v_mfma_f32_16x16x32_fp8_fp8 v[12:15], a[92:93], a[28:29], v[12:15]// 0000000037C8: D3F3000C 1C32395C
	v_mfma_f32_16x16x32_fp8_fp8 v[12:15], a[94:95], a[30:31], v[12:15]// 0000000037D0: D3F3000C 1C323D5E
	buffer_load_dword v59, s[20:23], 0 offen lds               // 0000000037D8: E0511000 8005003B
	s_add_u32 m0, 0, s48                                       // 0000000037E0: 807C3080
	v_fma_f32 v76, v8, v6, v76                                 // 0000000037E4: D1CB004C 05320D08
	v_fma_f32 v77, v9, v6, v77                                 // 0000000037EC: D1CB004D 05360D09
	v_fma_f32 v78, v10, v6, v78                                // 0000000037F4: D1CB004E 053A0D0A
	v_fma_f32 v79, v11, v6, v79                                // 0000000037FC: D1CB004F 053E0D0B
	v_mul_f32_dpp v4, v24, v39 row_newbcast:0 row_mask:0xf bank_mask:0xf// 000000003804: 0A084EFA FF015018
	v_mfma_f32_16x16x32_fp8_fp8 v[8:11], a[80:81], a[32:33], 0 // 00000000380C: D3F30008 1A024150
	v_mfma_f32_16x16x32_fp8_fp8 v[8:11], a[82:83], a[34:35], v[8:11]// 000000003814: D3F30008 1C224552
	buffer_load_dword v45, v30, s[28:31], 0 offen              // 00000000381C: E0501000 80072D1E
	v_mfma_f32_16x16x32_fp8_fp8 v[8:11], a[84:85], a[36:37], v[8:11]// 000000003824: D3F30008 1C224954
	v_mfma_f32_16x16x32_fp8_fp8 v[8:11], a[86:87], a[38:39], v[8:11]// 00000000382C: D3F30008 1C224D56
	buffer_load_dword v46, v31, s[28:31], 0 offen              // 000000003834: E0501000 80072E1F
	v_fma_f32 v96, v12, v6, v96                                // 00000000383C: D1CB0060 05820D0C
	v_fma_f32 v97, v13, v6, v97                                // 000000003844: D1CB0061 05860D0D
	v_fma_f32 v98, v14, v6, v98                                // 00000000384C: D1CB0062 058A0D0E
	v_fma_f32 v99, v15, v6, v99                                // 000000003854: D1CB0063 058E0D0F
	v_mfma_f32_16x16x32_fp8_fp8 v[12:15], a[88:89], a[32:33], 0// 00000000385C: D3F3000C 1A024158
	v_mfma_f32_16x16x32_fp8_fp8 v[12:15], a[90:91], a[34:35], v[12:15]// 000000003864: D3F3000C 1C32455A
	buffer_load_dword v47, v32, s[28:31], 0 offen              // 00000000386C: E0501000 80072F20
	v_mfma_f32_16x16x32_fp8_fp8 v[12:15], a[92:93], a[36:37], v[12:15]// 000000003874: D3F3000C 1C32495C
	v_mfma_f32_16x16x32_fp8_fp8 v[12:15], a[94:95], a[38:39], v[12:15]// 00000000387C: D3F3000C 1C324D5E
	buffer_load_dword v48, v33, s[28:31], 0 offen              // 000000003884: E0501000 80073021
	v_fma_f32 v80, v8, v4, v80                                 // 00000000388C: D1CB0050 05420908
	v_fma_f32 v81, v9, v4, v81                                 // 000000003894: D1CB0051 05460909
	v_fma_f32 v82, v10, v4, v82                                // 00000000389C: D1CB0052 054A090A
	v_fma_f32 v83, v11, v4, v83                                // 0000000038A4: D1CB0053 054E090B
	v_fma_f32 v100, v12, v4, v100                              // 0000000038AC: D1CB0064 0592090C
	v_fma_f32 v101, v13, v4, v101                              // 0000000038B4: D1CB0065 0596090D
	v_fma_f32 v102, v14, v4, v102                              // 0000000038BC: D1CB0066 059A090E
	v_fma_f32 v103, v15, v4, v103                              // 0000000038C4: D1CB0067 059E090F
	buffer_load_dword v49, v34, s[28:31], 0 offen              // 0000000038CC: E0501000 80073122
	s_waitcnt vmcnt(20)                                        // 0000000038D4: BF8C4F74
	s_barrier                                                  // 0000000038D8: BF8A0000
	v_mul_f32_dpp v4, v27, v35 row_newbcast:0 row_mask:0xf bank_mask:0xf// 0000000038DC: 0A0846FA FF01501B
	v_mfma_f32_16x16x32_fp8_fp8 v[8:11], a[96:97], a[0:1], 0   // 0000000038E4: D3F30008 1A020160
	buffer_load_dword v28, v23, s[32:35], 0 offen              // 0000000038EC: E0501000 80081C17
	v_mfma_f32_16x16x32_fp8_fp8 v[8:11], a[98:99], a[2:3], v[8:11]// 0000000038F4: D3F30008 1C220562
	buffer_load_dwordx4 a[80:83], v60, s[84:87], 0 offen       // 0000000038FC: E05C1000 8095503C
	v_mfma_f32_16x16x32_fp8_fp8 v[8:11], a[100:101], a[4:5], v[8:11]// 000000003904: D3F30008 1C220964
	v_mfma_f32_16x16x32_fp8_fp8 v[8:11], a[102:103], a[6:7], v[8:11]// 00000000390C: D3F30008 1C220D66
	ds_read_b128 a[40:43], v2 offset:10368                     // 000000003914: DBFE2880 28000002
	ds_read_b128 a[44:47], v2 offset:10432                     // 00000000391C: DBFE28C0 2C000002
	v_mfma_f32_16x16x32_fp8_fp8 v[12:15], a[104:105], a[0:1], 0// 000000003924: D3F3000C 1A020168
	v_mfma_f32_16x16x32_fp8_fp8 v[12:15], a[106:107], a[2:3], v[12:15]// 00000000392C: D3F3000C 1C32056A
	buffer_load_dwordx4 a[84:87], v60, s[84:87], 0 offen offset:1024// 000000003934: E05C1400 8095543C
	v_mfma_f32_16x16x32_fp8_fp8 v[12:15], a[108:109], a[4:5], v[12:15]// 00000000393C: D3F3000C 1C32096C
	v_mfma_f32_16x16x32_fp8_fp8 v[12:15], a[110:111], a[6:7], v[12:15]// 000000003944: D3F3000C 1C320D6E
	ds_read_b128 a[48:51], v2 offset:10880                     // 00000000394C: DBFE2A80 30000002
	ds_read_b128 a[52:55], v2 offset:10944                     // 000000003954: DBFE2AC0 34000002
	v_fma_f32 v104, v8, v4, v104                               // 00000000395C: D1CB0068 05A20908
	v_fma_f32 v105, v9, v4, v105                               // 000000003964: D1CB0069 05A60909
	v_fma_f32 v106, v10, v4, v106                              // 00000000396C: D1CB006A 05AA090A
	v_fma_f32 v107, v11, v4, v107                              // 000000003974: D1CB006B 05AE090B
	v_mul_f32_dpp v6, v27, v36 row_newbcast:0 row_mask:0xf bank_mask:0xf// 00000000397C: 0A0C48FA FF01501B
	v_mfma_f32_16x16x32_fp8_fp8 v[8:11], a[96:97], a[8:9], 0   // 000000003984: D3F30008 1A021160
	v_mfma_f32_16x16x32_fp8_fp8 v[8:11], a[98:99], a[10:11], v[8:11]// 00000000398C: D3F30008 1C221562
	buffer_load_dwordx4 a[88:91], v61, s[84:87], 0 offen       // 000000003994: E05C1000 8095583D
	v_mfma_f32_16x16x32_fp8_fp8 v[8:11], a[100:101], a[12:13], v[8:11]// 00000000399C: D3F30008 1C221964
	v_mfma_f32_16x16x32_fp8_fp8 v[8:11], a[102:103], a[14:15], v[8:11]// 0000000039A4: D3F30008 1C221D66
	ds_read_b128 a[56:59], v2 offset:11392                     // 0000000039AC: DBFE2C80 38000002
	ds_read_b128 a[60:63], v2 offset:11456                     // 0000000039B4: DBFE2CC0 3C000002
	v_fma_f32 v124, v12, v4, v124                              // 0000000039BC: D1CB007C 05F2090C
	v_fma_f32 v125, v13, v4, v125                              // 0000000039C4: D1CB007D 05F6090D
	v_fma_f32 v126, v14, v4, v126                              // 0000000039CC: D1CB007E 05FA090E
	v_fma_f32 v127, v15, v4, v127                              // 0000000039D4: D1CB007F 05FE090F
	v_mfma_f32_16x16x32_fp8_fp8 v[12:15], a[104:105], a[8:9], 0// 0000000039DC: D3F3000C 1A021168
	v_mfma_f32_16x16x32_fp8_fp8 v[12:15], a[106:107], a[10:11], v[12:15]// 0000000039E4: D3F3000C 1C32156A
	buffer_load_dwordx4 a[92:95], v61, s[84:87], 0 offen offset:1024// 0000000039EC: E05C1400 80955C3D
	v_mfma_f32_16x16x32_fp8_fp8 v[12:15], a[108:109], a[12:13], v[12:15]// 0000000039F4: D3F3000C 1C32196C
	v_mfma_f32_16x16x32_fp8_fp8 v[12:15], a[110:111], a[14:15], v[12:15]// 0000000039FC: D3F3000C 1C321D6E
	ds_read_b128 a[64:67], v2 offset:11904                     // 000000003A04: DBFE2E80 40000002
	ds_read_b128 a[68:71], v2 offset:11968                     // 000000003A0C: DBFE2EC0 44000002
	v_fma_f32 v108, v8, v6, v108                               // 000000003A14: D1CB006C 05B20D08
	v_fma_f32 v109, v9, v6, v109                               // 000000003A1C: D1CB006D 05B60D09
	v_fma_f32 v110, v10, v6, v110                              // 000000003A24: D1CB006E 05BA0D0A
	v_fma_f32 v111, v11, v6, v111                              // 000000003A2C: D1CB006F 05BE0D0B
	v_mul_f32_dpp v4, v27, v37 row_newbcast:0 row_mask:0xf bank_mask:0xf// 000000003A34: 0A084AFA FF01501B
	v_mfma_f32_16x16x32_fp8_fp8 v[8:11], a[96:97], a[16:17], 0 // 000000003A3C: D3F30008 1A022160
	v_mfma_f32_16x16x32_fp8_fp8 v[8:11], a[98:99], a[18:19], v[8:11]// 000000003A44: D3F30008 1C222562
	v_mfma_f32_16x16x32_fp8_fp8 v[8:11], a[100:101], a[20:21], v[8:11]// 000000003A4C: D3F30008 1C222964
	v_mfma_f32_16x16x32_fp8_fp8 v[8:11], a[102:103], a[22:23], v[8:11]// 000000003A54: D3F30008 1C222D66
	ds_read_b128 a[72:75], v2 offset:12416                     // 000000003A5C: DBFE3080 48000002
	ds_read_b128 a[76:79], v2 offset:12480                     // 000000003A64: DBFE30C0 4C000002
	v_fma_f32 v128, v12, v6, v128                              // 000000003A6C: D1CB0080 06020D0C
	v_fma_f32 v129, v13, v6, v129                              // 000000003A74: D1CB0081 06060D0D
	v_fma_f32 v130, v14, v6, v130                              // 000000003A7C: D1CB0082 060A0D0E
	v_fma_f32 v131, v15, v6, v131                              // 000000003A84: D1CB0083 060E0D0F
	v_mfma_f32_16x16x32_fp8_fp8 v[12:15], a[104:105], a[16:17], 0// 000000003A8C: D3F3000C 1A022168
	v_mfma_f32_16x16x32_fp8_fp8 v[12:15], a[106:107], a[18:19], v[12:15]// 000000003A94: D3F3000C 1C32256A
	v_mfma_f32_16x16x32_fp8_fp8 v[12:15], a[108:109], a[20:21], v[12:15]// 000000003A9C: D3F3000C 1C32296C
	v_mfma_f32_16x16x32_fp8_fp8 v[12:15], a[110:111], a[22:23], v[12:15]// 000000003AA4: D3F3000C 1C322D6E
	v_fma_f32 v112, v8, v4, v112                               // 000000003AAC: D1CB0070 05C20908
	v_fma_f32 v113, v9, v4, v113                               // 000000003AB4: D1CB0071 05C60909
	v_fma_f32 v114, v10, v4, v114                              // 000000003ABC: D1CB0072 05CA090A
	v_fma_f32 v115, v11, v4, v115                              // 000000003AC4: D1CB0073 05CE090B
	v_mul_f32_dpp v6, v27, v38 row_newbcast:0 row_mask:0xf bank_mask:0xf// 000000003ACC: 0A0C4CFA FF01501B
	v_mfma_f32_16x16x32_fp8_fp8 v[8:11], a[96:97], a[24:25], 0 // 000000003AD4: D3F30008 1A023160
	v_mfma_f32_16x16x32_fp8_fp8 v[8:11], a[98:99], a[26:27], v[8:11]// 000000003ADC: D3F30008 1C223562
	v_mfma_f32_16x16x32_fp8_fp8 v[8:11], a[100:101], a[28:29], v[8:11]// 000000003AE4: D3F30008 1C223964
	v_mfma_f32_16x16x32_fp8_fp8 v[8:11], a[102:103], a[30:31], v[8:11]// 000000003AEC: D3F30008 1C223D66
	v_fma_f32 v132, v12, v4, v132                              // 000000003AF4: D1CB0084 0612090C
	v_fma_f32 v133, v13, v4, v133                              // 000000003AFC: D1CB0085 0616090D
	v_fma_f32 v134, v14, v4, v134                              // 000000003B04: D1CB0086 061A090E
	v_fma_f32 v135, v15, v4, v135                              // 000000003B0C: D1CB0087 061E090F
	v_mfma_f32_16x16x32_fp8_fp8 v[12:15], a[104:105], a[24:25], 0// 000000003B14: D3F3000C 1A023168
	v_mfma_f32_16x16x32_fp8_fp8 v[12:15], a[106:107], a[26:27], v[12:15]// 000000003B1C: D3F3000C 1C32356A
	v_mfma_f32_16x16x32_fp8_fp8 v[12:15], a[108:109], a[28:29], v[12:15]// 000000003B24: D3F3000C 1C32396C
	v_mfma_f32_16x16x32_fp8_fp8 v[12:15], a[110:111], a[30:31], v[12:15]// 000000003B2C: D3F3000C 1C323D6E
	v_fma_f32 v116, v8, v6, v116                               // 000000003B34: D1CB0074 05D20D08
	v_fma_f32 v117, v9, v6, v117                               // 000000003B3C: D1CB0075 05D60D09
	v_fma_f32 v118, v10, v6, v118                              // 000000003B44: D1CB0076 05DA0D0A
	v_fma_f32 v119, v11, v6, v119                              // 000000003B4C: D1CB0077 05DE0D0B
	v_mul_f32_dpp v4, v27, v39 row_newbcast:0 row_mask:0xf bank_mask:0xf// 000000003B54: 0A084EFA FF01501B
	v_mfma_f32_16x16x32_fp8_fp8 v[8:11], a[96:97], a[32:33], 0 // 000000003B5C: D3F30008 1A024160
	s_add_u32 s60, 0x180, s80                                  // 000000003B64: 803C50FF 00000180
	s_cmp_lt_u32 s60, s81                                      // 000000003B6C: BF0A513C
	s_cselect_b32 s57, s57, 0                                  // 000000003B70: 85398039
	s_cselect_b32 s3, s3, 0                                    // 000000003B74: 85038003
	v_mfma_f32_16x16x32_fp8_fp8 v[8:11], a[98:99], a[34:35], v[8:11]// 000000003B78: D3F30008 1C224562
	s_add_u32 s60, 0x100, s80                                  // 000000003B80: 803C50FF 00000100
	s_cmp_lt_u32 s60, s81                                      // 000000003B88: BF0A513C
	s_cselect_b32 s58, s58, 0                                  // 000000003B8C: 853A803A
	v_mfma_f32_16x16x32_fp8_fp8 v[8:11], a[100:101], a[36:37], v[8:11]// 000000003B90: D3F30008 1C224964
	s_add_u32 s60, 0x100, s80                                  // 000000003B98: 803C50FF 00000100
	s_cmp_lt_u32 s60, s81                                      // 000000003BA0: BF0A513C
	s_cselect_b32 s83, s83, 0                                  // 000000003BA4: 85538053
	s_cselect_b32 s4, s4, 0                                    // 000000003BA8: 85048004
	v_mfma_f32_16x16x32_fp8_fp8 v[8:11], a[102:103], a[38:39], v[8:11]// 000000003BAC: D3F30008 1C224D66
	s_add_u32 s24, s58, s24                                    // 000000003BB4: 8018183A
	s_addc_u32 s25, 0, s25                                     // 000000003BB8: 82191980
	v_fma_f32 v136, v12, v6, v136                              // 000000003BBC: D1CB0088 06220D0C
	v_fma_f32 v137, v13, v6, v137                              // 000000003BC4: D1CB0089 06260D0D
	v_fma_f32 v138, v14, v6, v138                              // 000000003BCC: D1CB008A 062A0D0E
	v_fma_f32 v139, v15, v6, v139                              // 000000003BD4: D1CB008B 062E0D0F
	v_mfma_f32_16x16x32_fp8_fp8 v[12:15], a[104:105], a[32:33], 0// 000000003BDC: D3F3000C 1A024168
	s_add_u32 s20, s57, s20                                    // 000000003BE4: 80141439
	s_addc_u32 s21, 0, s21                                     // 000000003BE8: 82151580
	s_add_u32 s28, s3, s28                                     // 000000003BEC: 801C1C03
	s_addc_u32 s29, 0, s29                                     // 000000003BF0: 821D1D80
	v_mfma_f32_16x16x32_fp8_fp8 v[12:15], a[106:107], a[34:35], v[12:15]// 000000003BF4: D3F3000C 1C32456A
	s_add_u32 s84, s83, s84                                    // 000000003BFC: 80545453
	s_addc_u32 s85, 0, s85                                     // 000000003C00: 82555580
	v_mfma_f32_16x16x32_fp8_fp8 v[12:15], a[108:109], a[36:37], v[12:15]// 000000003C04: D3F3000C 1C32496C
	s_add_u32 s32, s4, s32                                     // 000000003C0C: 80202004
	s_addc_u32 s33, 0, s33                                     // 000000003C10: 82212180
	v_mfma_f32_16x16x32_fp8_fp8 v[12:15], a[110:111], a[38:39], v[12:15]// 000000003C14: D3F3000C 1C324D6E
	v_fma_f32 v120, v8, v4, v120                               // 000000003C1C: D1CB0078 05E20908
	v_fma_f32 v121, v9, v4, v121                               // 000000003C24: D1CB0079 05E60909
	v_fma_f32 v122, v10, v4, v122                              // 000000003C2C: D1CB007A 05EA090A
	v_fma_f32 v123, v11, v4, v123                              // 000000003C34: D1CB007B 05EE090B
	v_fma_f32 v140, v12, v4, v140                              // 000000003C3C: D1CB008C 0632090C
	v_fma_f32 v141, v13, v4, v141                              // 000000003C44: D1CB008D 0636090D
	v_fma_f32 v142, v14, v4, v142                              // 000000003C4C: D1CB008E 063A090E
	v_fma_f32 v143, v15, v4, v143                              // 000000003C54: D1CB008F 063E090F
	s_addk_i32 s80, 0x80                                       // 000000003C5C: B7500080
	s_cmp_lt_i32 s80, s81                                      // 000000003C60: BF045150
	s_cbranch_scc0 label_0D92                                  // 000000003C64: BF8408F8
	s_waitcnt vmcnt(20) lgkmcnt(0)                             // 000000003C68: BF8C4074
	v_mul_f32_dpp v4, v25, v40 row_newbcast:0 row_mask:0xf bank_mask:0xf// 000000003C6C: 0A0850FA FF015019
	v_mfma_f32_16x16x32_fp8_fp8 v[8:11], a[112:113], a[40:41], 0// 000000003C74: D3F30008 1A025170
	buffer_load_dword v26, v22, s[32:35], 0 offen              // 000000003C7C: E0501000 80081A16
	v_mfma_f32_16x16x32_fp8_fp8 v[8:11], a[114:115], a[42:43], v[8:11]// 000000003C84: D3F30008 1C225572
	buffer_load_dwordx4 a[96:99], v60, s[24:27], 0 offen       // 000000003C8C: E05C1000 8086603C
	v_mfma_f32_16x16x32_fp8_fp8 v[8:11], a[116:117], a[44:45], v[8:11]// 000000003C94: D3F30008 1C225974
	v_mfma_f32_16x16x32_fp8_fp8 v[8:11], a[118:119], a[46:47], v[8:11]// 000000003C9C: D3F30008 1C225D76
	v_mfma_f32_16x16x32_fp8_fp8 v[12:15], a[120:121], a[40:41], 0// 000000003CA4: D3F3000C 1A025178
	v_mfma_f32_16x16x32_fp8_fp8 v[12:15], a[122:123], a[42:43], v[12:15]// 000000003CAC: D3F3000C 1C32557A
	buffer_load_dwordx4 a[100:103], v60, s[24:27], 0 offen offset:1024// 000000003CB4: E05C1400 8086643C
	v_mfma_f32_16x16x32_fp8_fp8 v[12:15], a[124:125], a[44:45], v[12:15]// 000000003CBC: D3F3000C 1C32597C
	v_mfma_f32_16x16x32_fp8_fp8 v[12:15], a[126:127], a[46:47], v[12:15]// 000000003CC4: D3F3000C 1C325D7E
	v_fma_f32 v64, v8, v4, v64                                 // 000000003CCC: D1CB0040 05020908
	v_fma_f32 v65, v9, v4, v65                                 // 000000003CD4: D1CB0041 05060909
	v_fma_f32 v66, v10, v4, v66                                // 000000003CDC: D1CB0042 050A090A
	v_fma_f32 v67, v11, v4, v67                                // 000000003CE4: D1CB0043 050E090B
	v_mul_f32_dpp v6, v25, v41 row_newbcast:0 row_mask:0xf bank_mask:0xf// 000000003CEC: 0A0C52FA FF015019
	v_mfma_f32_16x16x32_fp8_fp8 v[8:11], a[112:113], a[48:49], 0// 000000003CF4: D3F30008 1A026170
	v_mfma_f32_16x16x32_fp8_fp8 v[8:11], a[114:115], a[50:51], v[8:11]// 000000003CFC: D3F30008 1C226572
	buffer_load_dwordx4 a[104:107], v61, s[24:27], 0 offen     // 000000003D04: E05C1000 8086683D
	v_mfma_f32_16x16x32_fp8_fp8 v[8:11], a[116:117], a[52:53], v[8:11]// 000000003D0C: D3F30008 1C226974
	v_mfma_f32_16x16x32_fp8_fp8 v[8:11], a[118:119], a[54:55], v[8:11]// 000000003D14: D3F30008 1C226D76
	v_fma_f32 v84, v12, v4, v84                                // 000000003D1C: D1CB0054 0552090C
	v_fma_f32 v85, v13, v4, v85                                // 000000003D24: D1CB0055 0556090D
	v_fma_f32 v86, v14, v4, v86                                // 000000003D2C: D1CB0056 055A090E
	v_fma_f32 v87, v15, v4, v87                                // 000000003D34: D1CB0057 055E090F
	v_mfma_f32_16x16x32_fp8_fp8 v[12:15], a[120:121], a[48:49], 0// 000000003D3C: D3F3000C 1A026178
	v_mfma_f32_16x16x32_fp8_fp8 v[12:15], a[122:123], a[50:51], v[12:15]// 000000003D44: D3F3000C 1C32657A
	buffer_load_dwordx4 a[108:111], v61, s[24:27], 0 offen offset:1024// 000000003D4C: E05C1400 80866C3D
	buffer_load_dword v50, s[20:23], 0 offen lds               // 000000003D54: E0511000 80050032
	s_add_u32 m0, 0x100, s48                                   // 000000003D5C: 807C30FF 00000100
	v_mfma_f32_16x16x32_fp8_fp8 v[12:15], a[124:125], a[52:53], v[12:15]// 000000003D64: D3F3000C 1C32697C
	v_mfma_f32_16x16x32_fp8_fp8 v[12:15], a[126:127], a[54:55], v[12:15]// 000000003D6C: D3F3000C 1C326D7E
	buffer_load_dword v51, s[20:23], 0 offen lds               // 000000003D74: E0511000 80050033
	s_add_u32 m0, 0x200, s48                                   // 000000003D7C: 807C30FF 00000200
	v_fma_f32 v68, v8, v6, v68                                 // 000000003D84: D1CB0044 05120D08
	v_fma_f32 v69, v9, v6, v69                                 // 000000003D8C: D1CB0045 05160D09
	v_fma_f32 v70, v10, v6, v70                                // 000000003D94: D1CB0046 051A0D0A
	v_fma_f32 v71, v11, v6, v71                                // 000000003D9C: D1CB0047 051E0D0B
	v_mul_f32_dpp v4, v25, v42 row_newbcast:0 row_mask:0xf bank_mask:0xf// 000000003DA4: 0A0854FA FF015019
	v_mfma_f32_16x16x32_fp8_fp8 v[8:11], a[112:113], a[56:57], 0// 000000003DAC: D3F30008 1A027170
	v_mfma_f32_16x16x32_fp8_fp8 v[8:11], a[114:115], a[58:59], v[8:11]// 000000003DB4: D3F30008 1C227572
	buffer_load_dword v52, s[20:23], 0 offen lds               // 000000003DBC: E0511000 80050034
	s_add_u32 m0, 0x300, s48                                   // 000000003DC4: 807C30FF 00000300
	v_mfma_f32_16x16x32_fp8_fp8 v[8:11], a[116:117], a[60:61], v[8:11]// 000000003DCC: D3F30008 1C227974
	v_mfma_f32_16x16x32_fp8_fp8 v[8:11], a[118:119], a[62:63], v[8:11]// 000000003DD4: D3F30008 1C227D76
	buffer_load_dword v53, s[20:23], 0 offen lds               // 000000003DDC: E0511000 80050035
	s_add_u32 m0, 0x400, s48                                   // 000000003DE4: 807C30FF 00000400
	v_fma_f32 v88, v12, v6, v88                                // 000000003DEC: D1CB0058 05620D0C
	v_fma_f32 v89, v13, v6, v89                                // 000000003DF4: D1CB0059 05660D0D
	v_fma_f32 v90, v14, v6, v90                                // 000000003DFC: D1CB005A 056A0D0E
	v_fma_f32 v91, v15, v6, v91                                // 000000003E04: D1CB005B 056E0D0F
	v_mfma_f32_16x16x32_fp8_fp8 v[12:15], a[120:121], a[56:57], 0// 000000003E0C: D3F3000C 1A027178
	v_mfma_f32_16x16x32_fp8_fp8 v[12:15], a[122:123], a[58:59], v[12:15]// 000000003E14: D3F3000C 1C32757A
	buffer_load_dword v54, s[20:23], 0 offen lds               // 000000003E1C: E0511000 80050036
	s_add_u32 m0, 0x500, s48                                   // 000000003E24: 807C30FF 00000500
	v_mfma_f32_16x16x32_fp8_fp8 v[12:15], a[124:125], a[60:61], v[12:15]// 000000003E2C: D3F3000C 1C32797C
	v_mfma_f32_16x16x32_fp8_fp8 v[12:15], a[126:127], a[62:63], v[12:15]// 000000003E34: D3F3000C 1C327D7E
	buffer_load_dword v55, s[20:23], 0 offen lds               // 000000003E3C: E0511000 80050037
	s_add_u32 m0, 0x600, s48                                   // 000000003E44: 807C30FF 00000600
	v_fma_f32 v72, v8, v4, v72                                 // 000000003E4C: D1CB0048 05220908
	v_fma_f32 v73, v9, v4, v73                                 // 000000003E54: D1CB0049 05260909
	v_fma_f32 v74, v10, v4, v74                                // 000000003E5C: D1CB004A 052A090A
	v_fma_f32 v75, v11, v4, v75                                // 000000003E64: D1CB004B 052E090B
	v_mul_f32_dpp v6, v25, v43 row_newbcast:0 row_mask:0xf bank_mask:0xf// 000000003E6C: 0A0C56FA FF015019
	v_mfma_f32_16x16x32_fp8_fp8 v[8:11], a[112:113], a[64:65], 0// 000000003E74: D3F30008 1A028170
	v_mfma_f32_16x16x32_fp8_fp8 v[8:11], a[114:115], a[66:67], v[8:11]// 000000003E7C: D3F30008 1C228572
	buffer_load_dword v56, s[20:23], 0 offen lds               // 000000003E84: E0511000 80050038
	s_add_u32 m0, 0x700, s48                                   // 000000003E8C: 807C30FF 00000700
	v_mfma_f32_16x16x32_fp8_fp8 v[8:11], a[116:117], a[68:69], v[8:11]// 000000003E94: D3F30008 1C228974
	v_mfma_f32_16x16x32_fp8_fp8 v[8:11], a[118:119], a[70:71], v[8:11]// 000000003E9C: D3F30008 1C228D76
	buffer_load_dword v57, s[20:23], 0 offen lds               // 000000003EA4: E0511000 80050039
	s_add_u32 m0, 0x800, s48                                   // 000000003EAC: 807C30FF 00000800
	v_fma_f32 v92, v12, v4, v92                                // 000000003EB4: D1CB005C 0572090C
	v_fma_f32 v93, v13, v4, v93                                // 000000003EBC: D1CB005D 0576090D
	v_fma_f32 v94, v14, v4, v94                                // 000000003EC4: D1CB005E 057A090E
	v_fma_f32 v95, v15, v4, v95                                // 000000003ECC: D1CB005F 057E090F
	v_mfma_f32_16x16x32_fp8_fp8 v[12:15], a[120:121], a[64:65], 0// 000000003ED4: D3F3000C 1A028178
	v_mfma_f32_16x16x32_fp8_fp8 v[12:15], a[122:123], a[66:67], v[12:15]// 000000003EDC: D3F3000C 1C32857A
	buffer_load_dword v58, s[20:23], 0 offen lds               // 000000003EE4: E0511000 8005003A
	s_add_u32 m0, 0x900, s48                                   // 000000003EEC: 807C30FF 00000900
	v_mfma_f32_16x16x32_fp8_fp8 v[12:15], a[124:125], a[68:69], v[12:15]// 000000003EF4: D3F3000C 1C32897C
	v_mfma_f32_16x16x32_fp8_fp8 v[12:15], a[126:127], a[70:71], v[12:15]// 000000003EFC: D3F3000C 1C328D7E
	buffer_load_dword v59, s[20:23], 0 offen lds               // 000000003F04: E0511000 8005003B
	s_add_u32 m0, 0, s49                                       // 000000003F0C: 807C3180
	v_fma_f32 v76, v8, v6, v76                                 // 000000003F10: D1CB004C 05320D08
	v_fma_f32 v77, v9, v6, v77                                 // 000000003F18: D1CB004D 05360D09
	v_fma_f32 v78, v10, v6, v78                                // 000000003F20: D1CB004E 053A0D0A
	v_fma_f32 v79, v11, v6, v79                                // 000000003F28: D1CB004F 053E0D0B
	v_mul_f32_dpp v4, v25, v44 row_newbcast:0 row_mask:0xf bank_mask:0xf// 000000003F30: 0A0858FA FF015019
	v_mfma_f32_16x16x32_fp8_fp8 v[8:11], a[112:113], a[72:73], 0// 000000003F38: D3F30008 1A029170
	v_mfma_f32_16x16x32_fp8_fp8 v[8:11], a[114:115], a[74:75], v[8:11]// 000000003F40: D3F30008 1C229572
	buffer_load_dword v35, v30, s[28:31], 0 offen              // 000000003F48: E0501000 8007231E
	v_mfma_f32_16x16x32_fp8_fp8 v[8:11], a[116:117], a[76:77], v[8:11]// 000000003F50: D3F30008 1C229974
	v_mfma_f32_16x16x32_fp8_fp8 v[8:11], a[118:119], a[78:79], v[8:11]// 000000003F58: D3F30008 1C229D76
	buffer_load_dword v36, v31, s[28:31], 0 offen              // 000000003F60: E0501000 8007241F
	v_fma_f32 v96, v12, v6, v96                                // 000000003F68: D1CB0060 05820D0C
	v_fma_f32 v97, v13, v6, v97                                // 000000003F70: D1CB0061 05860D0D
	v_fma_f32 v98, v14, v6, v98                                // 000000003F78: D1CB0062 058A0D0E
	v_fma_f32 v99, v15, v6, v99                                // 000000003F80: D1CB0063 058E0D0F
	v_mfma_f32_16x16x32_fp8_fp8 v[12:15], a[120:121], a[72:73], 0// 000000003F88: D3F3000C 1A029178
	v_mfma_f32_16x16x32_fp8_fp8 v[12:15], a[122:123], a[74:75], v[12:15]// 000000003F90: D3F3000C 1C32957A
	buffer_load_dword v37, v32, s[28:31], 0 offen              // 000000003F98: E0501000 80072520
	v_mfma_f32_16x16x32_fp8_fp8 v[12:15], a[124:125], a[76:77], v[12:15]// 000000003FA0: D3F3000C 1C32997C
	v_mfma_f32_16x16x32_fp8_fp8 v[12:15], a[126:127], a[78:79], v[12:15]// 000000003FA8: D3F3000C 1C329D7E
	buffer_load_dword v38, v33, s[28:31], 0 offen              // 000000003FB0: E0501000 80072621
	v_fma_f32 v80, v8, v4, v80                                 // 000000003FB8: D1CB0050 05420908
	v_fma_f32 v81, v9, v4, v81                                 // 000000003FC0: D1CB0051 05460909
	v_fma_f32 v82, v10, v4, v82                                // 000000003FC8: D1CB0052 054A090A
	v_fma_f32 v83, v11, v4, v83                                // 000000003FD0: D1CB0053 054E090B
	v_fma_f32 v100, v12, v4, v100                              // 000000003FD8: D1CB0064 0592090C
	v_fma_f32 v101, v13, v4, v101                              // 000000003FE0: D1CB0065 0596090D
	v_fma_f32 v102, v14, v4, v102                              // 000000003FE8: D1CB0066 059A090E
	v_fma_f32 v103, v15, v4, v103                              // 000000003FF0: D1CB0067 059E090F
	buffer_load_dword v39, v34, s[28:31], 0 offen              // 000000003FF8: E0501000 80072722
	s_waitcnt vmcnt(20)                                        // 000000004000: BF8C4F74
	s_barrier                                                  // 000000004004: BF8A0000
	v_mul_f32_dpp v4, v28, v40 row_newbcast:0 row_mask:0xf bank_mask:0xf// 000000004008: 0A0850FA FF01501C
	v_mfma_f32_16x16x32_fp8_fp8 v[8:11], a[80:81], a[40:41], 0 // 000000004010: D3F30008 1A025150
	buffer_load_dword v29, v23, s[32:35], 0 offen              // 000000004018: E0501000 80081D17
	v_mfma_f32_16x16x32_fp8_fp8 v[8:11], a[82:83], a[42:43], v[8:11]// 000000004020: D3F30008 1C225552
	buffer_load_dwordx4 a[112:115], v60, s[84:87], 0 offen     // 000000004028: E05C1000 8095703C
	v_mfma_f32_16x16x32_fp8_fp8 v[8:11], a[84:85], a[44:45], v[8:11]// 000000004030: D3F30008 1C225954
	v_mfma_f32_16x16x32_fp8_fp8 v[8:11], a[86:87], a[46:47], v[8:11]// 000000004038: D3F30008 1C225D56
	ds_read_b128 a[0:3], v2 offset:20736                       // 000000004040: DBFE5100 00000002
	ds_read_b128 a[4:7], v2 offset:20800                       // 000000004048: DBFE5140 04000002
	v_mfma_f32_16x16x32_fp8_fp8 v[12:15], a[88:89], a[40:41], 0// 000000004050: D3F3000C 1A025158
	v_mfma_f32_16x16x32_fp8_fp8 v[12:15], a[90:91], a[42:43], v[12:15]// 000000004058: D3F3000C 1C32555A
	buffer_load_dwordx4 a[116:119], v60, s[84:87], 0 offen offset:1024// 000000004060: E05C1400 8095743C
	v_mfma_f32_16x16x32_fp8_fp8 v[12:15], a[92:93], a[44:45], v[12:15]// 000000004068: D3F3000C 1C32595C
	v_mfma_f32_16x16x32_fp8_fp8 v[12:15], a[94:95], a[46:47], v[12:15]// 000000004070: D3F3000C 1C325D5E
	ds_read_b128 a[8:11], v2 offset:21248                      // 000000004078: DBFE5300 08000002
	ds_read_b128 a[12:15], v2 offset:21312                     // 000000004080: DBFE5340 0C000002
	v_fma_f32 v104, v8, v4, v104                               // 000000004088: D1CB0068 05A20908
	v_fma_f32 v105, v9, v4, v105                               // 000000004090: D1CB0069 05A60909
	v_fma_f32 v106, v10, v4, v106                              // 000000004098: D1CB006A 05AA090A
	v_fma_f32 v107, v11, v4, v107                              // 0000000040A0: D1CB006B 05AE090B
	v_mul_f32_dpp v6, v28, v41 row_newbcast:0 row_mask:0xf bank_mask:0xf// 0000000040A8: 0A0C52FA FF01501C
	v_mfma_f32_16x16x32_fp8_fp8 v[8:11], a[80:81], a[48:49], 0 // 0000000040B0: D3F30008 1A026150
	v_mfma_f32_16x16x32_fp8_fp8 v[8:11], a[82:83], a[50:51], v[8:11]// 0000000040B8: D3F30008 1C226552
	buffer_load_dwordx4 a[120:123], v61, s[84:87], 0 offen     // 0000000040C0: E05C1000 8095783D
	v_mfma_f32_16x16x32_fp8_fp8 v[8:11], a[84:85], a[52:53], v[8:11]// 0000000040C8: D3F30008 1C226954
	v_mfma_f32_16x16x32_fp8_fp8 v[8:11], a[86:87], a[54:55], v[8:11]// 0000000040D0: D3F30008 1C226D56
	ds_read_b128 a[16:19], v2 offset:21760                     // 0000000040D8: DBFE5500 10000002
	ds_read_b128 a[20:23], v2 offset:21824                     // 0000000040E0: DBFE5540 14000002
	v_fma_f32 v124, v12, v4, v124                              // 0000000040E8: D1CB007C 05F2090C
	v_fma_f32 v125, v13, v4, v125                              // 0000000040F0: D1CB007D 05F6090D
	v_fma_f32 v126, v14, v4, v126                              // 0000000040F8: D1CB007E 05FA090E
	v_fma_f32 v127, v15, v4, v127                              // 000000004100: D1CB007F 05FE090F
	v_mfma_f32_16x16x32_fp8_fp8 v[12:15], a[88:89], a[48:49], 0// 000000004108: D3F3000C 1A026158
	v_mfma_f32_16x16x32_fp8_fp8 v[12:15], a[90:91], a[50:51], v[12:15]// 000000004110: D3F3000C 1C32655A
	buffer_load_dwordx4 a[124:127], v61, s[84:87], 0 offen offset:1024// 000000004118: E05C1400 80957C3D
	v_mfma_f32_16x16x32_fp8_fp8 v[12:15], a[92:93], a[52:53], v[12:15]// 000000004120: D3F3000C 1C32695C
	v_mfma_f32_16x16x32_fp8_fp8 v[12:15], a[94:95], a[54:55], v[12:15]// 000000004128: D3F3000C 1C326D5E
	ds_read_b128 a[24:27], v2 offset:22272                     // 000000004130: DBFE5700 18000002
	ds_read_b128 a[28:31], v2 offset:22336                     // 000000004138: DBFE5740 1C000002
	v_fma_f32 v108, v8, v6, v108                               // 000000004140: D1CB006C 05B20D08
	v_fma_f32 v109, v9, v6, v109                               // 000000004148: D1CB006D 05B60D09
	v_fma_f32 v110, v10, v6, v110                              // 000000004150: D1CB006E 05BA0D0A
	v_fma_f32 v111, v11, v6, v111                              // 000000004158: D1CB006F 05BE0D0B
	v_mul_f32_dpp v4, v28, v42 row_newbcast:0 row_mask:0xf bank_mask:0xf// 000000004160: 0A0854FA FF01501C
	v_mfma_f32_16x16x32_fp8_fp8 v[8:11], a[80:81], a[56:57], 0 // 000000004168: D3F30008 1A027150
	v_mfma_f32_16x16x32_fp8_fp8 v[8:11], a[82:83], a[58:59], v[8:11]// 000000004170: D3F30008 1C227552
	v_mfma_f32_16x16x32_fp8_fp8 v[8:11], a[84:85], a[60:61], v[8:11]// 000000004178: D3F30008 1C227954
	v_mfma_f32_16x16x32_fp8_fp8 v[8:11], a[86:87], a[62:63], v[8:11]// 000000004180: D3F30008 1C227D56
	ds_read_b128 a[32:35], v2 offset:22784                     // 000000004188: DBFE5900 20000002
	ds_read_b128 a[36:39], v2 offset:22848                     // 000000004190: DBFE5940 24000002
	v_fma_f32 v128, v12, v6, v128                              // 000000004198: D1CB0080 06020D0C
	v_fma_f32 v129, v13, v6, v129                              // 0000000041A0: D1CB0081 06060D0D
	v_fma_f32 v130, v14, v6, v130                              // 0000000041A8: D1CB0082 060A0D0E
	v_fma_f32 v131, v15, v6, v131                              // 0000000041B0: D1CB0083 060E0D0F
	v_mfma_f32_16x16x32_fp8_fp8 v[12:15], a[88:89], a[56:57], 0// 0000000041B8: D3F3000C 1A027158
	v_mfma_f32_16x16x32_fp8_fp8 v[12:15], a[90:91], a[58:59], v[12:15]// 0000000041C0: D3F3000C 1C32755A
	v_mfma_f32_16x16x32_fp8_fp8 v[12:15], a[92:93], a[60:61], v[12:15]// 0000000041C8: D3F3000C 1C32795C
	v_mfma_f32_16x16x32_fp8_fp8 v[12:15], a[94:95], a[62:63], v[12:15]// 0000000041D0: D3F3000C 1C327D5E
	v_fma_f32 v112, v8, v4, v112                               // 0000000041D8: D1CB0070 05C20908
	v_fma_f32 v113, v9, v4, v113                               // 0000000041E0: D1CB0071 05C60909
	v_fma_f32 v114, v10, v4, v114                              // 0000000041E8: D1CB0072 05CA090A
	v_fma_f32 v115, v11, v4, v115                              // 0000000041F0: D1CB0073 05CE090B
	v_mul_f32_dpp v6, v28, v43 row_newbcast:0 row_mask:0xf bank_mask:0xf// 0000000041F8: 0A0C56FA FF01501C
	v_mfma_f32_16x16x32_fp8_fp8 v[8:11], a[80:81], a[64:65], 0 // 000000004200: D3F30008 1A028150
	v_mfma_f32_16x16x32_fp8_fp8 v[8:11], a[82:83], a[66:67], v[8:11]// 000000004208: D3F30008 1C228552
	v_mfma_f32_16x16x32_fp8_fp8 v[8:11], a[84:85], a[68:69], v[8:11]// 000000004210: D3F30008 1C228954
	v_mfma_f32_16x16x32_fp8_fp8 v[8:11], a[86:87], a[70:71], v[8:11]// 000000004218: D3F30008 1C228D56
	v_fma_f32 v132, v12, v4, v132                              // 000000004220: D1CB0084 0612090C
	v_fma_f32 v133, v13, v4, v133                              // 000000004228: D1CB0085 0616090D
	v_fma_f32 v134, v14, v4, v134                              // 000000004230: D1CB0086 061A090E
	v_fma_f32 v135, v15, v4, v135                              // 000000004238: D1CB0087 061E090F
	v_mfma_f32_16x16x32_fp8_fp8 v[12:15], a[88:89], a[64:65], 0// 000000004240: D3F3000C 1A028158
	v_mfma_f32_16x16x32_fp8_fp8 v[12:15], a[90:91], a[66:67], v[12:15]// 000000004248: D3F3000C 1C32855A
	v_mfma_f32_16x16x32_fp8_fp8 v[12:15], a[92:93], a[68:69], v[12:15]// 000000004250: D3F3000C 1C32895C
	v_mfma_f32_16x16x32_fp8_fp8 v[12:15], a[94:95], a[70:71], v[12:15]// 000000004258: D3F3000C 1C328D5E
	v_fma_f32 v116, v8, v6, v116                               // 000000004260: D1CB0074 05D20D08
	v_fma_f32 v117, v9, v6, v117                               // 000000004268: D1CB0075 05D60D09
	v_fma_f32 v118, v10, v6, v118                              // 000000004270: D1CB0076 05DA0D0A
	v_fma_f32 v119, v11, v6, v119                              // 000000004278: D1CB0077 05DE0D0B
	v_mul_f32_dpp v4, v28, v44 row_newbcast:0 row_mask:0xf bank_mask:0xf// 000000004280: 0A0858FA FF01501C
	v_mfma_f32_16x16x32_fp8_fp8 v[8:11], a[80:81], a[72:73], 0 // 000000004288: D3F30008 1A029150
	s_add_u32 s60, 0x180, s80                                  // 000000004290: 803C50FF 00000180
	s_cmp_lt_u32 s60, s81                                      // 000000004298: BF0A513C
	s_cselect_b32 s57, s57, 0                                  // 00000000429C: 85398039
	s_cselect_b32 s3, s3, 0                                    // 0000000042A0: 85038003
	v_mfma_f32_16x16x32_fp8_fp8 v[8:11], a[82:83], a[74:75], v[8:11]// 0000000042A4: D3F30008 1C229552
	s_add_u32 s60, 0x100, s80                                  // 0000000042AC: 803C50FF 00000100
	s_cmp_lt_u32 s60, s81                                      // 0000000042B4: BF0A513C
	s_cselect_b32 s58, s58, 0                                  // 0000000042B8: 853A803A
	v_mfma_f32_16x16x32_fp8_fp8 v[8:11], a[84:85], a[76:77], v[8:11]// 0000000042BC: D3F30008 1C229954
	s_add_u32 s60, 0x100, s80                                  // 0000000042C4: 803C50FF 00000100
	s_cmp_lt_u32 s60, s81                                      // 0000000042CC: BF0A513C
	s_cselect_b32 s83, s83, 0                                  // 0000000042D0: 85538053
	s_cselect_b32 s4, s4, 0                                    // 0000000042D4: 85048004
	v_mfma_f32_16x16x32_fp8_fp8 v[8:11], a[86:87], a[78:79], v[8:11]// 0000000042D8: D3F30008 1C229D56
	s_add_u32 s24, s58, s24                                    // 0000000042E0: 8018183A
	s_addc_u32 s25, 0, s25                                     // 0000000042E4: 82191980
	v_fma_f32 v136, v12, v6, v136                              // 0000000042E8: D1CB0088 06220D0C
	v_fma_f32 v137, v13, v6, v137                              // 0000000042F0: D1CB0089 06260D0D
	v_fma_f32 v138, v14, v6, v138                              // 0000000042F8: D1CB008A 062A0D0E
	v_fma_f32 v139, v15, v6, v139                              // 000000004300: D1CB008B 062E0D0F
	v_mfma_f32_16x16x32_fp8_fp8 v[12:15], a[88:89], a[72:73], 0// 000000004308: D3F3000C 1A029158
	s_add_u32 s20, s57, s20                                    // 000000004310: 80141439
	s_addc_u32 s21, 0, s21                                     // 000000004314: 82151580
	s_add_u32 s28, s3, s28                                     // 000000004318: 801C1C03
	s_addc_u32 s29, 0, s29                                     // 00000000431C: 821D1D80
	v_mfma_f32_16x16x32_fp8_fp8 v[12:15], a[90:91], a[74:75], v[12:15]// 000000004320: D3F3000C 1C32955A
	s_add_u32 s84, s83, s84                                    // 000000004328: 80545453
	s_addc_u32 s85, 0, s85                                     // 00000000432C: 82555580
	v_mfma_f32_16x16x32_fp8_fp8 v[12:15], a[92:93], a[76:77], v[12:15]// 000000004330: D3F3000C 1C32995C
	s_add_u32 s32, s4, s32                                     // 000000004338: 80202004
	s_addc_u32 s33, 0, s33                                     // 00000000433C: 82212180
	v_mfma_f32_16x16x32_fp8_fp8 v[12:15], a[94:95], a[78:79], v[12:15]// 000000004340: D3F3000C 1C329D5E
	v_fma_f32 v120, v8, v4, v120                               // 000000004348: D1CB0078 05E20908
	v_fma_f32 v121, v9, v4, v121                               // 000000004350: D1CB0079 05E60909
	v_fma_f32 v122, v10, v4, v122                              // 000000004358: D1CB007A 05EA090A
	v_fma_f32 v123, v11, v4, v123                              // 000000004360: D1CB007B 05EE090B
	v_fma_f32 v140, v12, v4, v140                              // 000000004368: D1CB008C 0632090C
	v_fma_f32 v141, v13, v4, v141                              // 000000004370: D1CB008D 0636090D
	v_fma_f32 v142, v14, v4, v142                              // 000000004378: D1CB008E 063A090E
	v_fma_f32 v143, v15, v4, v143                              // 000000004380: D1CB008F 063E090F
	s_addk_i32 s80, 0x80                                       // 000000004388: B7500080
	s_cmp_lt_i32 s80, s81                                      // 00000000438C: BF045150
	s_cbranch_scc0 label_0D92                                  // 000000004390: BF84072D
	s_waitcnt vmcnt(20) lgkmcnt(0)                             // 000000004394: BF8C4074
	v_mul_f32_dpp v4, v26, v45 row_newbcast:0 row_mask:0xf bank_mask:0xf// 000000004398: 0A085AFA FF01501A
	v_mfma_f32_16x16x32_fp8_fp8 v[8:11], a[96:97], a[0:1], 0   // 0000000043A0: D3F30008 1A020160
	buffer_load_dword v24, v22, s[32:35], 0 offen              // 0000000043A8: E0501000 80081816
	v_mfma_f32_16x16x32_fp8_fp8 v[8:11], a[98:99], a[2:3], v[8:11]// 0000000043B0: D3F30008 1C220562
	buffer_load_dwordx4 a[80:83], v60, s[24:27], 0 offen       // 0000000043B8: E05C1000 8086503C
	v_mfma_f32_16x16x32_fp8_fp8 v[8:11], a[100:101], a[4:5], v[8:11]// 0000000043C0: D3F30008 1C220964
	v_mfma_f32_16x16x32_fp8_fp8 v[8:11], a[102:103], a[6:7], v[8:11]// 0000000043C8: D3F30008 1C220D66
	v_mfma_f32_16x16x32_fp8_fp8 v[12:15], a[104:105], a[0:1], 0// 0000000043D0: D3F3000C 1A020168
	v_mfma_f32_16x16x32_fp8_fp8 v[12:15], a[106:107], a[2:3], v[12:15]// 0000000043D8: D3F3000C 1C32056A
	buffer_load_dwordx4 a[84:87], v60, s[24:27], 0 offen offset:1024// 0000000043E0: E05C1400 8086543C
	v_mfma_f32_16x16x32_fp8_fp8 v[12:15], a[108:109], a[4:5], v[12:15]// 0000000043E8: D3F3000C 1C32096C
	v_mfma_f32_16x16x32_fp8_fp8 v[12:15], a[110:111], a[6:7], v[12:15]// 0000000043F0: D3F3000C 1C320D6E
	v_fma_f32 v64, v8, v4, v64                                 // 0000000043F8: D1CB0040 05020908
	v_fma_f32 v65, v9, v4, v65                                 // 000000004400: D1CB0041 05060909
	v_fma_f32 v66, v10, v4, v66                                // 000000004408: D1CB0042 050A090A
	v_fma_f32 v67, v11, v4, v67                                // 000000004410: D1CB0043 050E090B
	v_mul_f32_dpp v6, v26, v46 row_newbcast:0 row_mask:0xf bank_mask:0xf// 000000004418: 0A0C5CFA FF01501A
	v_mfma_f32_16x16x32_fp8_fp8 v[8:11], a[96:97], a[8:9], 0   // 000000004420: D3F30008 1A021160
	v_mfma_f32_16x16x32_fp8_fp8 v[8:11], a[98:99], a[10:11], v[8:11]// 000000004428: D3F30008 1C221562
	buffer_load_dwordx4 a[88:91], v61, s[24:27], 0 offen       // 000000004430: E05C1000 8086583D
	v_mfma_f32_16x16x32_fp8_fp8 v[8:11], a[100:101], a[12:13], v[8:11]// 000000004438: D3F30008 1C221964
	v_mfma_f32_16x16x32_fp8_fp8 v[8:11], a[102:103], a[14:15], v[8:11]// 000000004440: D3F30008 1C221D66
	v_fma_f32 v84, v12, v4, v84                                // 000000004448: D1CB0054 0552090C
	v_fma_f32 v85, v13, v4, v85                                // 000000004450: D1CB0055 0556090D
	v_fma_f32 v86, v14, v4, v86                                // 000000004458: D1CB0056 055A090E
	v_fma_f32 v87, v15, v4, v87                                // 000000004460: D1CB0057 055E090F
	v_mfma_f32_16x16x32_fp8_fp8 v[12:15], a[104:105], a[8:9], 0// 000000004468: D3F3000C 1A021168
	v_mfma_f32_16x16x32_fp8_fp8 v[12:15], a[106:107], a[10:11], v[12:15]// 000000004470: D3F3000C 1C32156A
	buffer_load_dwordx4 a[92:95], v61, s[24:27], 0 offen offset:1024// 000000004478: E05C1400 80865C3D
	buffer_load_dword v50, s[20:23], 0 offen lds               // 000000004480: E0511000 80050032
	s_add_u32 m0, 0x100, s49                                   // 000000004488: 807C31FF 00000100
	v_mfma_f32_16x16x32_fp8_fp8 v[12:15], a[108:109], a[12:13], v[12:15]// 000000004490: D3F3000C 1C32196C
	v_mfma_f32_16x16x32_fp8_fp8 v[12:15], a[110:111], a[14:15], v[12:15]// 000000004498: D3F3000C 1C321D6E
	buffer_load_dword v51, s[20:23], 0 offen lds               // 0000000044A0: E0511000 80050033
	s_add_u32 m0, 0x200, s49                                   // 0000000044A8: 807C31FF 00000200
	v_fma_f32 v68, v8, v6, v68                                 // 0000000044B0: D1CB0044 05120D08
	v_fma_f32 v69, v9, v6, v69                                 // 0000000044B8: D1CB0045 05160D09
	v_fma_f32 v70, v10, v6, v70                                // 0000000044C0: D1CB0046 051A0D0A
	v_fma_f32 v71, v11, v6, v71                                // 0000000044C8: D1CB0047 051E0D0B
	v_mul_f32_dpp v4, v26, v47 row_newbcast:0 row_mask:0xf bank_mask:0xf// 0000000044D0: 0A085EFA FF01501A
	v_mfma_f32_16x16x32_fp8_fp8 v[8:11], a[96:97], a[16:17], 0 // 0000000044D8: D3F30008 1A022160
	v_mfma_f32_16x16x32_fp8_fp8 v[8:11], a[98:99], a[18:19], v[8:11]// 0000000044E0: D3F30008 1C222562
	buffer_load_dword v52, s[20:23], 0 offen lds               // 0000000044E8: E0511000 80050034
	s_add_u32 m0, 0x300, s49                                   // 0000000044F0: 807C31FF 00000300
	v_mfma_f32_16x16x32_fp8_fp8 v[8:11], a[100:101], a[20:21], v[8:11]// 0000000044F8: D3F30008 1C222964
	v_mfma_f32_16x16x32_fp8_fp8 v[8:11], a[102:103], a[22:23], v[8:11]// 000000004500: D3F30008 1C222D66
	buffer_load_dword v53, s[20:23], 0 offen lds               // 000000004508: E0511000 80050035
	s_add_u32 m0, 0x400, s49                                   // 000000004510: 807C31FF 00000400
	v_fma_f32 v88, v12, v6, v88                                // 000000004518: D1CB0058 05620D0C
	v_fma_f32 v89, v13, v6, v89                                // 000000004520: D1CB0059 05660D0D
	v_fma_f32 v90, v14, v6, v90                                // 000000004528: D1CB005A 056A0D0E
	v_fma_f32 v91, v15, v6, v91                                // 000000004530: D1CB005B 056E0D0F
	v_mfma_f32_16x16x32_fp8_fp8 v[12:15], a[104:105], a[16:17], 0// 000000004538: D3F3000C 1A022168
	v_mfma_f32_16x16x32_fp8_fp8 v[12:15], a[106:107], a[18:19], v[12:15]// 000000004540: D3F3000C 1C32256A
	buffer_load_dword v54, s[20:23], 0 offen lds               // 000000004548: E0511000 80050036
	s_add_u32 m0, 0x500, s49                                   // 000000004550: 807C31FF 00000500
	v_mfma_f32_16x16x32_fp8_fp8 v[12:15], a[108:109], a[20:21], v[12:15]// 000000004558: D3F3000C 1C32296C
	v_mfma_f32_16x16x32_fp8_fp8 v[12:15], a[110:111], a[22:23], v[12:15]// 000000004560: D3F3000C 1C322D6E
	buffer_load_dword v55, s[20:23], 0 offen lds               // 000000004568: E0511000 80050037
	s_add_u32 m0, 0x600, s49                                   // 000000004570: 807C31FF 00000600
	v_fma_f32 v72, v8, v4, v72                                 // 000000004578: D1CB0048 05220908
	v_fma_f32 v73, v9, v4, v73                                 // 000000004580: D1CB0049 05260909
	v_fma_f32 v74, v10, v4, v74                                // 000000004588: D1CB004A 052A090A
	v_fma_f32 v75, v11, v4, v75                                // 000000004590: D1CB004B 052E090B
	v_mul_f32_dpp v6, v26, v48 row_newbcast:0 row_mask:0xf bank_mask:0xf// 000000004598: 0A0C60FA FF01501A
	v_mfma_f32_16x16x32_fp8_fp8 v[8:11], a[96:97], a[24:25], 0 // 0000000045A0: D3F30008 1A023160
	v_mfma_f32_16x16x32_fp8_fp8 v[8:11], a[98:99], a[26:27], v[8:11]// 0000000045A8: D3F30008 1C223562
	buffer_load_dword v56, s[20:23], 0 offen lds               // 0000000045B0: E0511000 80050038
	s_add_u32 m0, 0x700, s49                                   // 0000000045B8: 807C31FF 00000700
	v_mfma_f32_16x16x32_fp8_fp8 v[8:11], a[100:101], a[28:29], v[8:11]// 0000000045C0: D3F30008 1C223964
	v_mfma_f32_16x16x32_fp8_fp8 v[8:11], a[102:103], a[30:31], v[8:11]// 0000000045C8: D3F30008 1C223D66
	buffer_load_dword v57, s[20:23], 0 offen lds               // 0000000045D0: E0511000 80050039
	s_add_u32 m0, 0x800, s49                                   // 0000000045D8: 807C31FF 00000800
	v_fma_f32 v92, v12, v4, v92                                // 0000000045E0: D1CB005C 0572090C
	v_fma_f32 v93, v13, v4, v93                                // 0000000045E8: D1CB005D 0576090D
	v_fma_f32 v94, v14, v4, v94                                // 0000000045F0: D1CB005E 057A090E
	v_fma_f32 v95, v15, v4, v95                                // 0000000045F8: D1CB005F 057E090F
	v_mfma_f32_16x16x32_fp8_fp8 v[12:15], a[104:105], a[24:25], 0// 000000004600: D3F3000C 1A023168
	v_mfma_f32_16x16x32_fp8_fp8 v[12:15], a[106:107], a[26:27], v[12:15]// 000000004608: D3F3000C 1C32356A
	buffer_load_dword v58, s[20:23], 0 offen lds               // 000000004610: E0511000 8005003A
	s_add_u32 m0, 0x900, s49                                   // 000000004618: 807C31FF 00000900
	v_mfma_f32_16x16x32_fp8_fp8 v[12:15], a[108:109], a[28:29], v[12:15]// 000000004620: D3F3000C 1C32396C
	v_mfma_f32_16x16x32_fp8_fp8 v[12:15], a[110:111], a[30:31], v[12:15]// 000000004628: D3F3000C 1C323D6E
	buffer_load_dword v59, s[20:23], 0 offen lds               // 000000004630: E0511000 8005003B
	s_add_u32 m0, 0, s50                                       // 000000004638: 807C3280
	v_fma_f32 v76, v8, v6, v76                                 // 00000000463C: D1CB004C 05320D08
	v_fma_f32 v77, v9, v6, v77                                 // 000000004644: D1CB004D 05360D09
	v_fma_f32 v78, v10, v6, v78                                // 00000000464C: D1CB004E 053A0D0A
	v_fma_f32 v79, v11, v6, v79                                // 000000004654: D1CB004F 053E0D0B
	v_mul_f32_dpp v4, v26, v49 row_newbcast:0 row_mask:0xf bank_mask:0xf// 00000000465C: 0A0862FA FF01501A
	v_mfma_f32_16x16x32_fp8_fp8 v[8:11], a[96:97], a[32:33], 0 // 000000004664: D3F30008 1A024160
	v_mfma_f32_16x16x32_fp8_fp8 v[8:11], a[98:99], a[34:35], v[8:11]// 00000000466C: D3F30008 1C224562
	buffer_load_dword v40, v30, s[28:31], 0 offen              // 000000004674: E0501000 8007281E
	v_mfma_f32_16x16x32_fp8_fp8 v[8:11], a[100:101], a[36:37], v[8:11]// 00000000467C: D3F30008 1C224964
	v_mfma_f32_16x16x32_fp8_fp8 v[8:11], a[102:103], a[38:39], v[8:11]// 000000004684: D3F30008 1C224D66
	buffer_load_dword v41, v31, s[28:31], 0 offen              // 00000000468C: E0501000 8007291F
	v_fma_f32 v96, v12, v6, v96                                // 000000004694: D1CB0060 05820D0C
	v_fma_f32 v97, v13, v6, v97                                // 00000000469C: D1CB0061 05860D0D
	v_fma_f32 v98, v14, v6, v98                                // 0000000046A4: D1CB0062 058A0D0E
	v_fma_f32 v99, v15, v6, v99                                // 0000000046AC: D1CB0063 058E0D0F
	v_mfma_f32_16x16x32_fp8_fp8 v[12:15], a[104:105], a[32:33], 0// 0000000046B4: D3F3000C 1A024168
	v_mfma_f32_16x16x32_fp8_fp8 v[12:15], a[106:107], a[34:35], v[12:15]// 0000000046BC: D3F3000C 1C32456A
	buffer_load_dword v42, v32, s[28:31], 0 offen              // 0000000046C4: E0501000 80072A20
	v_mfma_f32_16x16x32_fp8_fp8 v[12:15], a[108:109], a[36:37], v[12:15]// 0000000046CC: D3F3000C 1C32496C
	v_mfma_f32_16x16x32_fp8_fp8 v[12:15], a[110:111], a[38:39], v[12:15]// 0000000046D4: D3F3000C 1C324D6E
	buffer_load_dword v43, v33, s[28:31], 0 offen              // 0000000046DC: E0501000 80072B21
	v_fma_f32 v80, v8, v4, v80                                 // 0000000046E4: D1CB0050 05420908
	v_fma_f32 v81, v9, v4, v81                                 // 0000000046EC: D1CB0051 05460909
	v_fma_f32 v82, v10, v4, v82                                // 0000000046F4: D1CB0052 054A090A
	v_fma_f32 v83, v11, v4, v83                                // 0000000046FC: D1CB0053 054E090B
	v_fma_f32 v100, v12, v4, v100                              // 000000004704: D1CB0064 0592090C
	v_fma_f32 v101, v13, v4, v101                              // 00000000470C: D1CB0065 0596090D
	v_fma_f32 v102, v14, v4, v102                              // 000000004714: D1CB0066 059A090E
	v_fma_f32 v103, v15, v4, v103                              // 00000000471C: D1CB0067 059E090F
	buffer_load_dword v44, v34, s[28:31], 0 offen              // 000000004724: E0501000 80072C22
	s_waitcnt vmcnt(20)                                        // 00000000472C: BF8C4F74
	s_barrier                                                  // 000000004730: BF8A0000
	v_mul_f32_dpp v4, v29, v45 row_newbcast:0 row_mask:0xf bank_mask:0xf// 000000004734: 0A085AFA FF01501D
	v_mfma_f32_16x16x32_fp8_fp8 v[8:11], a[112:113], a[0:1], 0 // 00000000473C: D3F30008 1A020170
	buffer_load_dword v27, v23, s[32:35], 0 offen              // 000000004744: E0501000 80081B17
	v_mfma_f32_16x16x32_fp8_fp8 v[8:11], a[114:115], a[2:3], v[8:11]// 00000000474C: D3F30008 1C220572
	buffer_load_dwordx4 a[96:99], v60, s[84:87], 0 offen       // 000000004754: E05C1000 8095603C
	v_mfma_f32_16x16x32_fp8_fp8 v[8:11], a[116:117], a[4:5], v[8:11]// 00000000475C: D3F30008 1C220974
	v_mfma_f32_16x16x32_fp8_fp8 v[8:11], a[118:119], a[6:7], v[8:11]// 000000004764: D3F30008 1C220D76
	ds_read_b128 a[40:43], v2                                  // 00000000476C: DBFE0000 28000002
	ds_read_b128 a[44:47], v2 offset:64                        // 000000004774: DBFE0040 2C000002
	v_mfma_f32_16x16x32_fp8_fp8 v[12:15], a[120:121], a[0:1], 0// 00000000477C: D3F3000C 1A020178
	v_mfma_f32_16x16x32_fp8_fp8 v[12:15], a[122:123], a[2:3], v[12:15]// 000000004784: D3F3000C 1C32057A
	buffer_load_dwordx4 a[100:103], v60, s[84:87], 0 offen offset:1024// 00000000478C: E05C1400 8095643C
	v_mfma_f32_16x16x32_fp8_fp8 v[12:15], a[124:125], a[4:5], v[12:15]// 000000004794: D3F3000C 1C32097C
	v_mfma_f32_16x16x32_fp8_fp8 v[12:15], a[126:127], a[6:7], v[12:15]// 00000000479C: D3F3000C 1C320D7E
	ds_read_b128 a[48:51], v2 offset:512                       // 0000000047A4: DBFE0200 30000002
	ds_read_b128 a[52:55], v2 offset:576                       // 0000000047AC: DBFE0240 34000002
	v_fma_f32 v104, v8, v4, v104                               // 0000000047B4: D1CB0068 05A20908
	v_fma_f32 v105, v9, v4, v105                               // 0000000047BC: D1CB0069 05A60909
	v_fma_f32 v106, v10, v4, v106                              // 0000000047C4: D1CB006A 05AA090A
	v_fma_f32 v107, v11, v4, v107                              // 0000000047CC: D1CB006B 05AE090B
	v_mul_f32_dpp v6, v29, v46 row_newbcast:0 row_mask:0xf bank_mask:0xf// 0000000047D4: 0A0C5CFA FF01501D
	v_mfma_f32_16x16x32_fp8_fp8 v[8:11], a[112:113], a[8:9], 0 // 0000000047DC: D3F30008 1A021170
	v_mfma_f32_16x16x32_fp8_fp8 v[8:11], a[114:115], a[10:11], v[8:11]// 0000000047E4: D3F30008 1C221572
	buffer_load_dwordx4 a[104:107], v61, s[84:87], 0 offen     // 0000000047EC: E05C1000 8095683D
	v_mfma_f32_16x16x32_fp8_fp8 v[8:11], a[116:117], a[12:13], v[8:11]// 0000000047F4: D3F30008 1C221974
	v_mfma_f32_16x16x32_fp8_fp8 v[8:11], a[118:119], a[14:15], v[8:11]// 0000000047FC: D3F30008 1C221D76
	ds_read_b128 a[56:59], v2 offset:1024                      // 000000004804: DBFE0400 38000002
	ds_read_b128 a[60:63], v2 offset:1088                      // 00000000480C: DBFE0440 3C000002
	v_fma_f32 v124, v12, v4, v124                              // 000000004814: D1CB007C 05F2090C
	v_fma_f32 v125, v13, v4, v125                              // 00000000481C: D1CB007D 05F6090D
	v_fma_f32 v126, v14, v4, v126                              // 000000004824: D1CB007E 05FA090E
	v_fma_f32 v127, v15, v4, v127                              // 00000000482C: D1CB007F 05FE090F
	v_mfma_f32_16x16x32_fp8_fp8 v[12:15], a[120:121], a[8:9], 0// 000000004834: D3F3000C 1A021178
	v_mfma_f32_16x16x32_fp8_fp8 v[12:15], a[122:123], a[10:11], v[12:15]// 00000000483C: D3F3000C 1C32157A
	buffer_load_dwordx4 a[108:111], v61, s[84:87], 0 offen offset:1024// 000000004844: E05C1400 80956C3D
	v_mfma_f32_16x16x32_fp8_fp8 v[12:15], a[124:125], a[12:13], v[12:15]// 00000000484C: D3F3000C 1C32197C
	v_mfma_f32_16x16x32_fp8_fp8 v[12:15], a[126:127], a[14:15], v[12:15]// 000000004854: D3F3000C 1C321D7E
	ds_read_b128 a[64:67], v2 offset:1536                      // 00000000485C: DBFE0600 40000002
	ds_read_b128 a[68:71], v2 offset:1600                      // 000000004864: DBFE0640 44000002
	v_fma_f32 v108, v8, v6, v108                               // 00000000486C: D1CB006C 05B20D08
	v_fma_f32 v109, v9, v6, v109                               // 000000004874: D1CB006D 05B60D09
	v_fma_f32 v110, v10, v6, v110                              // 00000000487C: D1CB006E 05BA0D0A
	v_fma_f32 v111, v11, v6, v111                              // 000000004884: D1CB006F 05BE0D0B
	v_mul_f32_dpp v4, v29, v47 row_newbcast:0 row_mask:0xf bank_mask:0xf// 00000000488C: 0A085EFA FF01501D
	v_mfma_f32_16x16x32_fp8_fp8 v[8:11], a[112:113], a[16:17], 0// 000000004894: D3F30008 1A022170
	v_mfma_f32_16x16x32_fp8_fp8 v[8:11], a[114:115], a[18:19], v[8:11]// 00000000489C: D3F30008 1C222572
	v_mfma_f32_16x16x32_fp8_fp8 v[8:11], a[116:117], a[20:21], v[8:11]// 0000000048A4: D3F30008 1C222974
	v_mfma_f32_16x16x32_fp8_fp8 v[8:11], a[118:119], a[22:23], v[8:11]// 0000000048AC: D3F30008 1C222D76
	ds_read_b128 a[72:75], v2 offset:2048                      // 0000000048B4: DBFE0800 48000002
	ds_read_b128 a[76:79], v2 offset:2112                      // 0000000048BC: DBFE0840 4C000002
	v_fma_f32 v128, v12, v6, v128                              // 0000000048C4: D1CB0080 06020D0C
	v_fma_f32 v129, v13, v6, v129                              // 0000000048CC: D1CB0081 06060D0D
	v_fma_f32 v130, v14, v6, v130                              // 0000000048D4: D1CB0082 060A0D0E
	v_fma_f32 v131, v15, v6, v131                              // 0000000048DC: D1CB0083 060E0D0F
	v_mfma_f32_16x16x32_fp8_fp8 v[12:15], a[120:121], a[16:17], 0// 0000000048E4: D3F3000C 1A022178
	v_mfma_f32_16x16x32_fp8_fp8 v[12:15], a[122:123], a[18:19], v[12:15]// 0000000048EC: D3F3000C 1C32257A
	v_mfma_f32_16x16x32_fp8_fp8 v[12:15], a[124:125], a[20:21], v[12:15]// 0000000048F4: D3F3000C 1C32297C
	v_mfma_f32_16x16x32_fp8_fp8 v[12:15], a[126:127], a[22:23], v[12:15]// 0000000048FC: D3F3000C 1C322D7E
	v_fma_f32 v112, v8, v4, v112                               // 000000004904: D1CB0070 05C20908
	v_fma_f32 v113, v9, v4, v113                               // 00000000490C: D1CB0071 05C60909
	v_fma_f32 v114, v10, v4, v114                              // 000000004914: D1CB0072 05CA090A
	v_fma_f32 v115, v11, v4, v115                              // 00000000491C: D1CB0073 05CE090B
	v_mul_f32_dpp v6, v29, v48 row_newbcast:0 row_mask:0xf bank_mask:0xf// 000000004924: 0A0C60FA FF01501D
	v_mfma_f32_16x16x32_fp8_fp8 v[8:11], a[112:113], a[24:25], 0// 00000000492C: D3F30008 1A023170
	v_mfma_f32_16x16x32_fp8_fp8 v[8:11], a[114:115], a[26:27], v[8:11]// 000000004934: D3F30008 1C223572
	v_mfma_f32_16x16x32_fp8_fp8 v[8:11], a[116:117], a[28:29], v[8:11]// 00000000493C: D3F30008 1C223974
	v_mfma_f32_16x16x32_fp8_fp8 v[8:11], a[118:119], a[30:31], v[8:11]// 000000004944: D3F30008 1C223D76
	v_fma_f32 v132, v12, v4, v132                              // 00000000494C: D1CB0084 0612090C
	v_fma_f32 v133, v13, v4, v133                              // 000000004954: D1CB0085 0616090D
	v_fma_f32 v134, v14, v4, v134                              // 00000000495C: D1CB0086 061A090E
	v_fma_f32 v135, v15, v4, v135                              // 000000004964: D1CB0087 061E090F
	v_mfma_f32_16x16x32_fp8_fp8 v[12:15], a[120:121], a[24:25], 0// 00000000496C: D3F3000C 1A023178
	v_mfma_f32_16x16x32_fp8_fp8 v[12:15], a[122:123], a[26:27], v[12:15]// 000000004974: D3F3000C 1C32357A
	v_mfma_f32_16x16x32_fp8_fp8 v[12:15], a[124:125], a[28:29], v[12:15]// 00000000497C: D3F3000C 1C32397C
	v_mfma_f32_16x16x32_fp8_fp8 v[12:15], a[126:127], a[30:31], v[12:15]// 000000004984: D3F3000C 1C323D7E
	v_fma_f32 v116, v8, v6, v116                               // 00000000498C: D1CB0074 05D20D08
	v_fma_f32 v117, v9, v6, v117                               // 000000004994: D1CB0075 05D60D09
	v_fma_f32 v118, v10, v6, v118                              // 00000000499C: D1CB0076 05DA0D0A
	v_fma_f32 v119, v11, v6, v119                              // 0000000049A4: D1CB0077 05DE0D0B
	v_mul_f32_dpp v4, v29, v49 row_newbcast:0 row_mask:0xf bank_mask:0xf// 0000000049AC: 0A0862FA FF01501D
	v_mfma_f32_16x16x32_fp8_fp8 v[8:11], a[112:113], a[32:33], 0// 0000000049B4: D3F30008 1A024170
	s_add_u32 s60, 0x180, s80                                  // 0000000049BC: 803C50FF 00000180
	s_cmp_lt_u32 s60, s81                                      // 0000000049C4: BF0A513C
	s_cselect_b32 s57, s57, 0                                  // 0000000049C8: 85398039
	s_cselect_b32 s3, s3, 0                                    // 0000000049CC: 85038003
	v_mfma_f32_16x16x32_fp8_fp8 v[8:11], a[114:115], a[34:35], v[8:11]// 0000000049D0: D3F30008 1C224572
	s_add_u32 s60, 0x100, s80                                  // 0000000049D8: 803C50FF 00000100
	s_cmp_lt_u32 s60, s81                                      // 0000000049E0: BF0A513C
	s_cselect_b32 s58, s58, 0                                  // 0000000049E4: 853A803A
	v_mfma_f32_16x16x32_fp8_fp8 v[8:11], a[116:117], a[36:37], v[8:11]// 0000000049E8: D3F30008 1C224974
	s_add_u32 s60, 0x100, s80                                  // 0000000049F0: 803C50FF 00000100
	s_cmp_lt_u32 s60, s81                                      // 0000000049F8: BF0A513C
	s_cselect_b32 s83, s83, 0                                  // 0000000049FC: 85538053
	s_cselect_b32 s4, s4, 0                                    // 000000004A00: 85048004
	v_mfma_f32_16x16x32_fp8_fp8 v[8:11], a[118:119], a[38:39], v[8:11]// 000000004A04: D3F30008 1C224D76
	s_add_u32 s24, s58, s24                                    // 000000004A0C: 8018183A
	s_addc_u32 s25, 0, s25                                     // 000000004A10: 82191980
	v_fma_f32 v136, v12, v6, v136                              // 000000004A14: D1CB0088 06220D0C
	v_fma_f32 v137, v13, v6, v137                              // 000000004A1C: D1CB0089 06260D0D
	v_fma_f32 v138, v14, v6, v138                              // 000000004A24: D1CB008A 062A0D0E
	v_fma_f32 v139, v15, v6, v139                              // 000000004A2C: D1CB008B 062E0D0F
	v_mfma_f32_16x16x32_fp8_fp8 v[12:15], a[120:121], a[32:33], 0// 000000004A34: D3F3000C 1A024178
	s_add_u32 s20, s57, s20                                    // 000000004A3C: 80141439
	s_addc_u32 s21, 0, s21                                     // 000000004A40: 82151580
	s_add_u32 s28, s3, s28                                     // 000000004A44: 801C1C03
	s_addc_u32 s29, 0, s29                                     // 000000004A48: 821D1D80
	v_mfma_f32_16x16x32_fp8_fp8 v[12:15], a[122:123], a[34:35], v[12:15]// 000000004A4C: D3F3000C 1C32457A
	s_add_u32 s84, s83, s84                                    // 000000004A54: 80545453
	s_addc_u32 s85, 0, s85                                     // 000000004A58: 82555580
	v_mfma_f32_16x16x32_fp8_fp8 v[12:15], a[124:125], a[36:37], v[12:15]// 000000004A5C: D3F3000C 1C32497C
	s_add_u32 s32, s4, s32                                     // 000000004A64: 80202004
	s_addc_u32 s33, 0, s33                                     // 000000004A68: 82212180
	v_mfma_f32_16x16x32_fp8_fp8 v[12:15], a[126:127], a[38:39], v[12:15]// 000000004A6C: D3F3000C 1C324D7E
	v_fma_f32 v120, v8, v4, v120                               // 000000004A74: D1CB0078 05E20908
	v_fma_f32 v121, v9, v4, v121                               // 000000004A7C: D1CB0079 05E60909
	v_fma_f32 v122, v10, v4, v122                              // 000000004A84: D1CB007A 05EA090A
	v_fma_f32 v123, v11, v4, v123                              // 000000004A8C: D1CB007B 05EE090B
	v_fma_f32 v140, v12, v4, v140                              // 000000004A94: D1CB008C 0632090C
	v_fma_f32 v141, v13, v4, v141                              // 000000004A9C: D1CB008D 0636090D
	v_fma_f32 v142, v14, v4, v142                              // 000000004AA4: D1CB008E 063A090E
	v_fma_f32 v143, v15, v4, v143                              // 000000004AAC: D1CB008F 063E090F
	s_addk_i32 s80, 0x80                                       // 000000004AB4: B7500080
	s_cmp_lt_i32 s80, s81                                      // 000000004AB8: BF045150
	s_cbranch_scc0 label_0D92                                  // 000000004ABC: BF840562
	s_waitcnt vmcnt(20) lgkmcnt(0)                             // 000000004AC0: BF8C4074
	v_mul_f32_dpp v4, v24, v35 row_newbcast:0 row_mask:0xf bank_mask:0xf// 000000004AC4: 0A0846FA FF015018
	v_mfma_f32_16x16x32_fp8_fp8 v[8:11], a[80:81], a[40:41], 0 // 000000004ACC: D3F30008 1A025150
	buffer_load_dword v25, v22, s[32:35], 0 offen              // 000000004AD4: E0501000 80081916
	v_mfma_f32_16x16x32_fp8_fp8 v[8:11], a[82:83], a[42:43], v[8:11]// 000000004ADC: D3F30008 1C225552
	buffer_load_dwordx4 a[112:115], v60, s[24:27], 0 offen     // 000000004AE4: E05C1000 8086703C
	v_mfma_f32_16x16x32_fp8_fp8 v[8:11], a[84:85], a[44:45], v[8:11]// 000000004AEC: D3F30008 1C225954
	v_mfma_f32_16x16x32_fp8_fp8 v[8:11], a[86:87], a[46:47], v[8:11]// 000000004AF4: D3F30008 1C225D56
	v_mfma_f32_16x16x32_fp8_fp8 v[12:15], a[88:89], a[40:41], 0// 000000004AFC: D3F3000C 1A025158
	v_mfma_f32_16x16x32_fp8_fp8 v[12:15], a[90:91], a[42:43], v[12:15]// 000000004B04: D3F3000C 1C32555A
	buffer_load_dwordx4 a[116:119], v60, s[24:27], 0 offen offset:1024// 000000004B0C: E05C1400 8086743C
	v_mfma_f32_16x16x32_fp8_fp8 v[12:15], a[92:93], a[44:45], v[12:15]// 000000004B14: D3F3000C 1C32595C
	v_mfma_f32_16x16x32_fp8_fp8 v[12:15], a[94:95], a[46:47], v[12:15]// 000000004B1C: D3F3000C 1C325D5E
	v_fma_f32 v64, v8, v4, v64                                 // 000000004B24: D1CB0040 05020908
	v_fma_f32 v65, v9, v4, v65                                 // 000000004B2C: D1CB0041 05060909
	v_fma_f32 v66, v10, v4, v66                                // 000000004B34: D1CB0042 050A090A
	v_fma_f32 v67, v11, v4, v67                                // 000000004B3C: D1CB0043 050E090B
	v_mul_f32_dpp v6, v24, v36 row_newbcast:0 row_mask:0xf bank_mask:0xf// 000000004B44: 0A0C48FA FF015018
	v_mfma_f32_16x16x32_fp8_fp8 v[8:11], a[80:81], a[48:49], 0 // 000000004B4C: D3F30008 1A026150
	v_mfma_f32_16x16x32_fp8_fp8 v[8:11], a[82:83], a[50:51], v[8:11]// 000000004B54: D3F30008 1C226552
	buffer_load_dwordx4 a[120:123], v61, s[24:27], 0 offen     // 000000004B5C: E05C1000 8086783D
	v_mfma_f32_16x16x32_fp8_fp8 v[8:11], a[84:85], a[52:53], v[8:11]// 000000004B64: D3F30008 1C226954
	v_mfma_f32_16x16x32_fp8_fp8 v[8:11], a[86:87], a[54:55], v[8:11]// 000000004B6C: D3F30008 1C226D56
	v_fma_f32 v84, v12, v4, v84                                // 000000004B74: D1CB0054 0552090C
	v_fma_f32 v85, v13, v4, v85                                // 000000004B7C: D1CB0055 0556090D
	v_fma_f32 v86, v14, v4, v86                                // 000000004B84: D1CB0056 055A090E
	v_fma_f32 v87, v15, v4, v87                                // 000000004B8C: D1CB0057 055E090F
	v_mfma_f32_16x16x32_fp8_fp8 v[12:15], a[88:89], a[48:49], 0// 000000004B94: D3F3000C 1A026158
	v_mfma_f32_16x16x32_fp8_fp8 v[12:15], a[90:91], a[50:51], v[12:15]// 000000004B9C: D3F3000C 1C32655A
	buffer_load_dwordx4 a[124:127], v61, s[24:27], 0 offen offset:1024// 000000004BA4: E05C1400 80867C3D
	buffer_load_dword v50, s[20:23], 0 offen lds               // 000000004BAC: E0511000 80050032
	s_add_u32 m0, 0x100, s50                                   // 000000004BB4: 807C32FF 00000100
	v_mfma_f32_16x16x32_fp8_fp8 v[12:15], a[92:93], a[52:53], v[12:15]// 000000004BBC: D3F3000C 1C32695C
	v_mfma_f32_16x16x32_fp8_fp8 v[12:15], a[94:95], a[54:55], v[12:15]// 000000004BC4: D3F3000C 1C326D5E
	buffer_load_dword v51, s[20:23], 0 offen lds               // 000000004BCC: E0511000 80050033
	s_add_u32 m0, 0x200, s50                                   // 000000004BD4: 807C32FF 00000200
	v_fma_f32 v68, v8, v6, v68                                 // 000000004BDC: D1CB0044 05120D08
	v_fma_f32 v69, v9, v6, v69                                 // 000000004BE4: D1CB0045 05160D09
	v_fma_f32 v70, v10, v6, v70                                // 000000004BEC: D1CB0046 051A0D0A
	v_fma_f32 v71, v11, v6, v71                                // 000000004BF4: D1CB0047 051E0D0B
	v_mul_f32_dpp v4, v24, v37 row_newbcast:0 row_mask:0xf bank_mask:0xf// 000000004BFC: 0A084AFA FF015018
	v_mfma_f32_16x16x32_fp8_fp8 v[8:11], a[80:81], a[56:57], 0 // 000000004C04: D3F30008 1A027150
	v_mfma_f32_16x16x32_fp8_fp8 v[8:11], a[82:83], a[58:59], v[8:11]// 000000004C0C: D3F30008 1C227552
	buffer_load_dword v52, s[20:23], 0 offen lds               // 000000004C14: E0511000 80050034
	s_add_u32 m0, 0x300, s50                                   // 000000004C1C: 807C32FF 00000300
	v_mfma_f32_16x16x32_fp8_fp8 v[8:11], a[84:85], a[60:61], v[8:11]// 000000004C24: D3F30008 1C227954
	v_mfma_f32_16x16x32_fp8_fp8 v[8:11], a[86:87], a[62:63], v[8:11]// 000000004C2C: D3F30008 1C227D56
	buffer_load_dword v53, s[20:23], 0 offen lds               // 000000004C34: E0511000 80050035
	s_add_u32 m0, 0x400, s50                                   // 000000004C3C: 807C32FF 00000400
	v_fma_f32 v88, v12, v6, v88                                // 000000004C44: D1CB0058 05620D0C
	v_fma_f32 v89, v13, v6, v89                                // 000000004C4C: D1CB0059 05660D0D
	v_fma_f32 v90, v14, v6, v90                                // 000000004C54: D1CB005A 056A0D0E
	v_fma_f32 v91, v15, v6, v91                                // 000000004C5C: D1CB005B 056E0D0F
	v_mfma_f32_16x16x32_fp8_fp8 v[12:15], a[88:89], a[56:57], 0// 000000004C64: D3F3000C 1A027158
	v_mfma_f32_16x16x32_fp8_fp8 v[12:15], a[90:91], a[58:59], v[12:15]// 000000004C6C: D3F3000C 1C32755A
	buffer_load_dword v54, s[20:23], 0 offen lds               // 000000004C74: E0511000 80050036
	s_add_u32 m0, 0x500, s50                                   // 000000004C7C: 807C32FF 00000500
	v_mfma_f32_16x16x32_fp8_fp8 v[12:15], a[92:93], a[60:61], v[12:15]// 000000004C84: D3F3000C 1C32795C
	v_mfma_f32_16x16x32_fp8_fp8 v[12:15], a[94:95], a[62:63], v[12:15]// 000000004C8C: D3F3000C 1C327D5E
	buffer_load_dword v55, s[20:23], 0 offen lds               // 000000004C94: E0511000 80050037
	s_add_u32 m0, 0x600, s50                                   // 000000004C9C: 807C32FF 00000600
	v_fma_f32 v72, v8, v4, v72                                 // 000000004CA4: D1CB0048 05220908
	v_fma_f32 v73, v9, v4, v73                                 // 000000004CAC: D1CB0049 05260909
	v_fma_f32 v74, v10, v4, v74                                // 000000004CB4: D1CB004A 052A090A
	v_fma_f32 v75, v11, v4, v75                                // 000000004CBC: D1CB004B 052E090B
	v_mul_f32_dpp v6, v24, v38 row_newbcast:0 row_mask:0xf bank_mask:0xf// 000000004CC4: 0A0C4CFA FF015018
	v_mfma_f32_16x16x32_fp8_fp8 v[8:11], a[80:81], a[64:65], 0 // 000000004CCC: D3F30008 1A028150
	v_mfma_f32_16x16x32_fp8_fp8 v[8:11], a[82:83], a[66:67], v[8:11]// 000000004CD4: D3F30008 1C228552
	buffer_load_dword v56, s[20:23], 0 offen lds               // 000000004CDC: E0511000 80050038
	s_add_u32 m0, 0x700, s50                                   // 000000004CE4: 807C32FF 00000700
	v_mfma_f32_16x16x32_fp8_fp8 v[8:11], a[84:85], a[68:69], v[8:11]// 000000004CEC: D3F30008 1C228954
	v_mfma_f32_16x16x32_fp8_fp8 v[8:11], a[86:87], a[70:71], v[8:11]// 000000004CF4: D3F30008 1C228D56
	buffer_load_dword v57, s[20:23], 0 offen lds               // 000000004CFC: E0511000 80050039
	s_add_u32 m0, 0x800, s50                                   // 000000004D04: 807C32FF 00000800
	v_fma_f32 v92, v12, v4, v92                                // 000000004D0C: D1CB005C 0572090C
	v_fma_f32 v93, v13, v4, v93                                // 000000004D14: D1CB005D 0576090D
	v_fma_f32 v94, v14, v4, v94                                // 000000004D1C: D1CB005E 057A090E
	v_fma_f32 v95, v15, v4, v95                                // 000000004D24: D1CB005F 057E090F
	v_mfma_f32_16x16x32_fp8_fp8 v[12:15], a[88:89], a[64:65], 0// 000000004D2C: D3F3000C 1A028158
	v_mfma_f32_16x16x32_fp8_fp8 v[12:15], a[90:91], a[66:67], v[12:15]// 000000004D34: D3F3000C 1C32855A
	buffer_load_dword v58, s[20:23], 0 offen lds               // 000000004D3C: E0511000 8005003A
	s_add_u32 m0, 0x900, s50                                   // 000000004D44: 807C32FF 00000900
	v_mfma_f32_16x16x32_fp8_fp8 v[12:15], a[92:93], a[68:69], v[12:15]// 000000004D4C: D3F3000C 1C32895C
	v_mfma_f32_16x16x32_fp8_fp8 v[12:15], a[94:95], a[70:71], v[12:15]// 000000004D54: D3F3000C 1C328D5E
	buffer_load_dword v59, s[20:23], 0 offen lds               // 000000004D5C: E0511000 8005003B
	s_add_u32 m0, 0, s48                                       // 000000004D64: 807C3080
	v_fma_f32 v76, v8, v6, v76                                 // 000000004D68: D1CB004C 05320D08
	v_fma_f32 v77, v9, v6, v77                                 // 000000004D70: D1CB004D 05360D09
	v_fma_f32 v78, v10, v6, v78                                // 000000004D78: D1CB004E 053A0D0A
	v_fma_f32 v79, v11, v6, v79                                // 000000004D80: D1CB004F 053E0D0B
	v_mul_f32_dpp v4, v24, v39 row_newbcast:0 row_mask:0xf bank_mask:0xf// 000000004D88: 0A084EFA FF015018
	v_mfma_f32_16x16x32_fp8_fp8 v[8:11], a[80:81], a[72:73], 0 // 000000004D90: D3F30008 1A029150
	v_mfma_f32_16x16x32_fp8_fp8 v[8:11], a[82:83], a[74:75], v[8:11]// 000000004D98: D3F30008 1C229552
	buffer_load_dword v45, v30, s[28:31], 0 offen              // 000000004DA0: E0501000 80072D1E
	v_mfma_f32_16x16x32_fp8_fp8 v[8:11], a[84:85], a[76:77], v[8:11]// 000000004DA8: D3F30008 1C229954
	v_mfma_f32_16x16x32_fp8_fp8 v[8:11], a[86:87], a[78:79], v[8:11]// 000000004DB0: D3F30008 1C229D56
	buffer_load_dword v46, v31, s[28:31], 0 offen              // 000000004DB8: E0501000 80072E1F
	v_fma_f32 v96, v12, v6, v96                                // 000000004DC0: D1CB0060 05820D0C
	v_fma_f32 v97, v13, v6, v97                                // 000000004DC8: D1CB0061 05860D0D
	v_fma_f32 v98, v14, v6, v98                                // 000000004DD0: D1CB0062 058A0D0E
	v_fma_f32 v99, v15, v6, v99                                // 000000004DD8: D1CB0063 058E0D0F
	v_mfma_f32_16x16x32_fp8_fp8 v[12:15], a[88:89], a[72:73], 0// 000000004DE0: D3F3000C 1A029158
	v_mfma_f32_16x16x32_fp8_fp8 v[12:15], a[90:91], a[74:75], v[12:15]// 000000004DE8: D3F3000C 1C32955A
	buffer_load_dword v47, v32, s[28:31], 0 offen              // 000000004DF0: E0501000 80072F20
	v_mfma_f32_16x16x32_fp8_fp8 v[12:15], a[92:93], a[76:77], v[12:15]// 000000004DF8: D3F3000C 1C32995C
	v_mfma_f32_16x16x32_fp8_fp8 v[12:15], a[94:95], a[78:79], v[12:15]// 000000004E00: D3F3000C 1C329D5E
	buffer_load_dword v48, v33, s[28:31], 0 offen              // 000000004E08: E0501000 80073021
	v_fma_f32 v80, v8, v4, v80                                 // 000000004E10: D1CB0050 05420908
	v_fma_f32 v81, v9, v4, v81                                 // 000000004E18: D1CB0051 05460909
	v_fma_f32 v82, v10, v4, v82                                // 000000004E20: D1CB0052 054A090A
	v_fma_f32 v83, v11, v4, v83                                // 000000004E28: D1CB0053 054E090B
	v_fma_f32 v100, v12, v4, v100                              // 000000004E30: D1CB0064 0592090C
	v_fma_f32 v101, v13, v4, v101                              // 000000004E38: D1CB0065 0596090D
	v_fma_f32 v102, v14, v4, v102                              // 000000004E40: D1CB0066 059A090E
	v_fma_f32 v103, v15, v4, v103                              // 000000004E48: D1CB0067 059E090F
	buffer_load_dword v49, v34, s[28:31], 0 offen              // 000000004E50: E0501000 80073122
	s_waitcnt vmcnt(20)                                        // 000000004E58: BF8C4F74
	s_barrier                                                  // 000000004E5C: BF8A0000
	v_mul_f32_dpp v4, v27, v35 row_newbcast:0 row_mask:0xf bank_mask:0xf// 000000004E60: 0A0846FA FF01501B
	v_mfma_f32_16x16x32_fp8_fp8 v[8:11], a[96:97], a[40:41], 0 // 000000004E68: D3F30008 1A025160
	buffer_load_dword v28, v23, s[32:35], 0 offen              // 000000004E70: E0501000 80081C17
	v_mfma_f32_16x16x32_fp8_fp8 v[8:11], a[98:99], a[42:43], v[8:11]// 000000004E78: D3F30008 1C225562
	buffer_load_dwordx4 a[80:83], v60, s[84:87], 0 offen       // 000000004E80: E05C1000 8095503C
	v_mfma_f32_16x16x32_fp8_fp8 v[8:11], a[100:101], a[44:45], v[8:11]// 000000004E88: D3F30008 1C225964
	v_mfma_f32_16x16x32_fp8_fp8 v[8:11], a[102:103], a[46:47], v[8:11]// 000000004E90: D3F30008 1C225D66
	ds_read_b128 a[0:3], v2 offset:10368                       // 000000004E98: DBFE2880 00000002
	ds_read_b128 a[4:7], v2 offset:10432                       // 000000004EA0: DBFE28C0 04000002
	v_mfma_f32_16x16x32_fp8_fp8 v[12:15], a[104:105], a[40:41], 0// 000000004EA8: D3F3000C 1A025168
	v_mfma_f32_16x16x32_fp8_fp8 v[12:15], a[106:107], a[42:43], v[12:15]// 000000004EB0: D3F3000C 1C32556A
	buffer_load_dwordx4 a[84:87], v60, s[84:87], 0 offen offset:1024// 000000004EB8: E05C1400 8095543C
	v_mfma_f32_16x16x32_fp8_fp8 v[12:15], a[108:109], a[44:45], v[12:15]// 000000004EC0: D3F3000C 1C32596C
	v_mfma_f32_16x16x32_fp8_fp8 v[12:15], a[110:111], a[46:47], v[12:15]// 000000004EC8: D3F3000C 1C325D6E
	ds_read_b128 a[8:11], v2 offset:10880                      // 000000004ED0: DBFE2A80 08000002
	ds_read_b128 a[12:15], v2 offset:10944                     // 000000004ED8: DBFE2AC0 0C000002
	v_fma_f32 v104, v8, v4, v104                               // 000000004EE0: D1CB0068 05A20908
	v_fma_f32 v105, v9, v4, v105                               // 000000004EE8: D1CB0069 05A60909
	v_fma_f32 v106, v10, v4, v106                              // 000000004EF0: D1CB006A 05AA090A
	v_fma_f32 v107, v11, v4, v107                              // 000000004EF8: D1CB006B 05AE090B
	v_mul_f32_dpp v6, v27, v36 row_newbcast:0 row_mask:0xf bank_mask:0xf// 000000004F00: 0A0C48FA FF01501B
	v_mfma_f32_16x16x32_fp8_fp8 v[8:11], a[96:97], a[48:49], 0 // 000000004F08: D3F30008 1A026160
	v_mfma_f32_16x16x32_fp8_fp8 v[8:11], a[98:99], a[50:51], v[8:11]// 000000004F10: D3F30008 1C226562
	buffer_load_dwordx4 a[88:91], v61, s[84:87], 0 offen       // 000000004F18: E05C1000 8095583D
	v_mfma_f32_16x16x32_fp8_fp8 v[8:11], a[100:101], a[52:53], v[8:11]// 000000004F20: D3F30008 1C226964
	v_mfma_f32_16x16x32_fp8_fp8 v[8:11], a[102:103], a[54:55], v[8:11]// 000000004F28: D3F30008 1C226D66
	ds_read_b128 a[16:19], v2 offset:11392                     // 000000004F30: DBFE2C80 10000002
	ds_read_b128 a[20:23], v2 offset:11456                     // 000000004F38: DBFE2CC0 14000002
	v_fma_f32 v124, v12, v4, v124                              // 000000004F40: D1CB007C 05F2090C
	v_fma_f32 v125, v13, v4, v125                              // 000000004F48: D1CB007D 05F6090D
	v_fma_f32 v126, v14, v4, v126                              // 000000004F50: D1CB007E 05FA090E
	v_fma_f32 v127, v15, v4, v127                              // 000000004F58: D1CB007F 05FE090F
	v_mfma_f32_16x16x32_fp8_fp8 v[12:15], a[104:105], a[48:49], 0// 000000004F60: D3F3000C 1A026168
	v_mfma_f32_16x16x32_fp8_fp8 v[12:15], a[106:107], a[50:51], v[12:15]// 000000004F68: D3F3000C 1C32656A
	buffer_load_dwordx4 a[92:95], v61, s[84:87], 0 offen offset:1024// 000000004F70: E05C1400 80955C3D
	v_mfma_f32_16x16x32_fp8_fp8 v[12:15], a[108:109], a[52:53], v[12:15]// 000000004F78: D3F3000C 1C32696C
	v_mfma_f32_16x16x32_fp8_fp8 v[12:15], a[110:111], a[54:55], v[12:15]// 000000004F80: D3F3000C 1C326D6E
	ds_read_b128 a[24:27], v2 offset:11904                     // 000000004F88: DBFE2E80 18000002
	ds_read_b128 a[28:31], v2 offset:11968                     // 000000004F90: DBFE2EC0 1C000002
	v_fma_f32 v108, v8, v6, v108                               // 000000004F98: D1CB006C 05B20D08
	v_fma_f32 v109, v9, v6, v109                               // 000000004FA0: D1CB006D 05B60D09
	v_fma_f32 v110, v10, v6, v110                              // 000000004FA8: D1CB006E 05BA0D0A
	v_fma_f32 v111, v11, v6, v111                              // 000000004FB0: D1CB006F 05BE0D0B
	v_mul_f32_dpp v4, v27, v37 row_newbcast:0 row_mask:0xf bank_mask:0xf// 000000004FB8: 0A084AFA FF01501B
	v_mfma_f32_16x16x32_fp8_fp8 v[8:11], a[96:97], a[56:57], 0 // 000000004FC0: D3F30008 1A027160
	v_mfma_f32_16x16x32_fp8_fp8 v[8:11], a[98:99], a[58:59], v[8:11]// 000000004FC8: D3F30008 1C227562
	v_mfma_f32_16x16x32_fp8_fp8 v[8:11], a[100:101], a[60:61], v[8:11]// 000000004FD0: D3F30008 1C227964
	v_mfma_f32_16x16x32_fp8_fp8 v[8:11], a[102:103], a[62:63], v[8:11]// 000000004FD8: D3F30008 1C227D66
	ds_read_b128 a[32:35], v2 offset:12416                     // 000000004FE0: DBFE3080 20000002
	ds_read_b128 a[36:39], v2 offset:12480                     // 000000004FE8: DBFE30C0 24000002
	v_fma_f32 v128, v12, v6, v128                              // 000000004FF0: D1CB0080 06020D0C
	v_fma_f32 v129, v13, v6, v129                              // 000000004FF8: D1CB0081 06060D0D
	v_fma_f32 v130, v14, v6, v130                              // 000000005000: D1CB0082 060A0D0E
	v_fma_f32 v131, v15, v6, v131                              // 000000005008: D1CB0083 060E0D0F
	v_mfma_f32_16x16x32_fp8_fp8 v[12:15], a[104:105], a[56:57], 0// 000000005010: D3F3000C 1A027168
	v_mfma_f32_16x16x32_fp8_fp8 v[12:15], a[106:107], a[58:59], v[12:15]// 000000005018: D3F3000C 1C32756A
	v_mfma_f32_16x16x32_fp8_fp8 v[12:15], a[108:109], a[60:61], v[12:15]// 000000005020: D3F3000C 1C32796C
	v_mfma_f32_16x16x32_fp8_fp8 v[12:15], a[110:111], a[62:63], v[12:15]// 000000005028: D3F3000C 1C327D6E
	v_fma_f32 v112, v8, v4, v112                               // 000000005030: D1CB0070 05C20908
	v_fma_f32 v113, v9, v4, v113                               // 000000005038: D1CB0071 05C60909
	v_fma_f32 v114, v10, v4, v114                              // 000000005040: D1CB0072 05CA090A
	v_fma_f32 v115, v11, v4, v115                              // 000000005048: D1CB0073 05CE090B
	v_mul_f32_dpp v6, v27, v38 row_newbcast:0 row_mask:0xf bank_mask:0xf// 000000005050: 0A0C4CFA FF01501B
	v_mfma_f32_16x16x32_fp8_fp8 v[8:11], a[96:97], a[64:65], 0 // 000000005058: D3F30008 1A028160
	v_mfma_f32_16x16x32_fp8_fp8 v[8:11], a[98:99], a[66:67], v[8:11]// 000000005060: D3F30008 1C228562
	v_mfma_f32_16x16x32_fp8_fp8 v[8:11], a[100:101], a[68:69], v[8:11]// 000000005068: D3F30008 1C228964
	v_mfma_f32_16x16x32_fp8_fp8 v[8:11], a[102:103], a[70:71], v[8:11]// 000000005070: D3F30008 1C228D66
	v_fma_f32 v132, v12, v4, v132                              // 000000005078: D1CB0084 0612090C
	v_fma_f32 v133, v13, v4, v133                              // 000000005080: D1CB0085 0616090D
	v_fma_f32 v134, v14, v4, v134                              // 000000005088: D1CB0086 061A090E
	v_fma_f32 v135, v15, v4, v135                              // 000000005090: D1CB0087 061E090F
	v_mfma_f32_16x16x32_fp8_fp8 v[12:15], a[104:105], a[64:65], 0// 000000005098: D3F3000C 1A028168
	v_mfma_f32_16x16x32_fp8_fp8 v[12:15], a[106:107], a[66:67], v[12:15]// 0000000050A0: D3F3000C 1C32856A
	v_mfma_f32_16x16x32_fp8_fp8 v[12:15], a[108:109], a[68:69], v[12:15]// 0000000050A8: D3F3000C 1C32896C
	v_mfma_f32_16x16x32_fp8_fp8 v[12:15], a[110:111], a[70:71], v[12:15]// 0000000050B0: D3F3000C 1C328D6E
	v_fma_f32 v116, v8, v6, v116                               // 0000000050B8: D1CB0074 05D20D08
	v_fma_f32 v117, v9, v6, v117                               // 0000000050C0: D1CB0075 05D60D09
	v_fma_f32 v118, v10, v6, v118                              // 0000000050C8: D1CB0076 05DA0D0A
	v_fma_f32 v119, v11, v6, v119                              // 0000000050D0: D1CB0077 05DE0D0B
	v_mul_f32_dpp v4, v27, v39 row_newbcast:0 row_mask:0xf bank_mask:0xf// 0000000050D8: 0A084EFA FF01501B
	v_mfma_f32_16x16x32_fp8_fp8 v[8:11], a[96:97], a[72:73], 0 // 0000000050E0: D3F30008 1A029160
	s_add_u32 s60, 0x180, s80                                  // 0000000050E8: 803C50FF 00000180
	s_cmp_lt_u32 s60, s81                                      // 0000000050F0: BF0A513C
	s_cselect_b32 s57, s57, 0                                  // 0000000050F4: 85398039
	s_cselect_b32 s3, s3, 0                                    // 0000000050F8: 85038003
	v_mfma_f32_16x16x32_fp8_fp8 v[8:11], a[98:99], a[74:75], v[8:11]// 0000000050FC: D3F30008 1C229562
	s_add_u32 s60, 0x100, s80                                  // 000000005104: 803C50FF 00000100
	s_cmp_lt_u32 s60, s81                                      // 00000000510C: BF0A513C
	s_cselect_b32 s58, s58, 0                                  // 000000005110: 853A803A
	v_mfma_f32_16x16x32_fp8_fp8 v[8:11], a[100:101], a[76:77], v[8:11]// 000000005114: D3F30008 1C229964
	s_add_u32 s60, 0x100, s80                                  // 00000000511C: 803C50FF 00000100
	s_cmp_lt_u32 s60, s81                                      // 000000005124: BF0A513C
	s_cselect_b32 s83, s83, 0                                  // 000000005128: 85538053
	s_cselect_b32 s4, s4, 0                                    // 00000000512C: 85048004
	v_mfma_f32_16x16x32_fp8_fp8 v[8:11], a[102:103], a[78:79], v[8:11]// 000000005130: D3F30008 1C229D66
	s_add_u32 s24, s58, s24                                    // 000000005138: 8018183A
	s_addc_u32 s25, 0, s25                                     // 00000000513C: 82191980
	v_fma_f32 v136, v12, v6, v136                              // 000000005140: D1CB0088 06220D0C
	v_fma_f32 v137, v13, v6, v137                              // 000000005148: D1CB0089 06260D0D
	v_fma_f32 v138, v14, v6, v138                              // 000000005150: D1CB008A 062A0D0E
	v_fma_f32 v139, v15, v6, v139                              // 000000005158: D1CB008B 062E0D0F
	v_mfma_f32_16x16x32_fp8_fp8 v[12:15], a[104:105], a[72:73], 0// 000000005160: D3F3000C 1A029168
	s_add_u32 s20, s57, s20                                    // 000000005168: 80141439
	s_addc_u32 s21, 0, s21                                     // 00000000516C: 82151580
	s_add_u32 s28, s3, s28                                     // 000000005170: 801C1C03
	s_addc_u32 s29, 0, s29                                     // 000000005174: 821D1D80
	v_mfma_f32_16x16x32_fp8_fp8 v[12:15], a[106:107], a[74:75], v[12:15]// 000000005178: D3F3000C 1C32956A
	s_add_u32 s84, s83, s84                                    // 000000005180: 80545453
	s_addc_u32 s85, 0, s85                                     // 000000005184: 82555580
	v_mfma_f32_16x16x32_fp8_fp8 v[12:15], a[108:109], a[76:77], v[12:15]// 000000005188: D3F3000C 1C32996C
	s_add_u32 s32, s4, s32                                     // 000000005190: 80202004
	s_addc_u32 s33, 0, s33                                     // 000000005194: 82212180
	v_mfma_f32_16x16x32_fp8_fp8 v[12:15], a[110:111], a[78:79], v[12:15]// 000000005198: D3F3000C 1C329D6E
	v_fma_f32 v120, v8, v4, v120                               // 0000000051A0: D1CB0078 05E20908
	v_fma_f32 v121, v9, v4, v121                               // 0000000051A8: D1CB0079 05E60909
	v_fma_f32 v122, v10, v4, v122                              // 0000000051B0: D1CB007A 05EA090A
	v_fma_f32 v123, v11, v4, v123                              // 0000000051B8: D1CB007B 05EE090B
	v_fma_f32 v140, v12, v4, v140                              // 0000000051C0: D1CB008C 0632090C
	v_fma_f32 v141, v13, v4, v141                              // 0000000051C8: D1CB008D 0636090D
	v_fma_f32 v142, v14, v4, v142                              // 0000000051D0: D1CB008E 063A090E
	v_fma_f32 v143, v15, v4, v143                              // 0000000051D8: D1CB008F 063E090F
	s_addk_i32 s80, 0x80                                       // 0000000051E0: B7500080
	s_cmp_lt_i32 s80, s81                                      // 0000000051E4: BF045150
	s_cbranch_scc0 label_0D92                                  // 0000000051E8: BF840397
	s_waitcnt vmcnt(20) lgkmcnt(0)                             // 0000000051EC: BF8C4074
	v_mul_f32_dpp v4, v25, v40 row_newbcast:0 row_mask:0xf bank_mask:0xf// 0000000051F0: 0A0850FA FF015019
	v_mfma_f32_16x16x32_fp8_fp8 v[8:11], a[112:113], a[0:1], 0 // 0000000051F8: D3F30008 1A020170
	buffer_load_dword v26, v22, s[32:35], 0 offen              // 000000005200: E0501000 80081A16
	v_mfma_f32_16x16x32_fp8_fp8 v[8:11], a[114:115], a[2:3], v[8:11]// 000000005208: D3F30008 1C220572
	buffer_load_dwordx4 a[96:99], v60, s[24:27], 0 offen       // 000000005210: E05C1000 8086603C
	v_mfma_f32_16x16x32_fp8_fp8 v[8:11], a[116:117], a[4:5], v[8:11]// 000000005218: D3F30008 1C220974
	v_mfma_f32_16x16x32_fp8_fp8 v[8:11], a[118:119], a[6:7], v[8:11]// 000000005220: D3F30008 1C220D76
	v_mfma_f32_16x16x32_fp8_fp8 v[12:15], a[120:121], a[0:1], 0// 000000005228: D3F3000C 1A020178
	v_mfma_f32_16x16x32_fp8_fp8 v[12:15], a[122:123], a[2:3], v[12:15]// 000000005230: D3F3000C 1C32057A
	buffer_load_dwordx4 a[100:103], v60, s[24:27], 0 offen offset:1024// 000000005238: E05C1400 8086643C
	v_mfma_f32_16x16x32_fp8_fp8 v[12:15], a[124:125], a[4:5], v[12:15]// 000000005240: D3F3000C 1C32097C
	v_mfma_f32_16x16x32_fp8_fp8 v[12:15], a[126:127], a[6:7], v[12:15]// 000000005248: D3F3000C 1C320D7E
	v_fma_f32 v64, v8, v4, v64                                 // 000000005250: D1CB0040 05020908
	v_fma_f32 v65, v9, v4, v65                                 // 000000005258: D1CB0041 05060909
	v_fma_f32 v66, v10, v4, v66                                // 000000005260: D1CB0042 050A090A
	v_fma_f32 v67, v11, v4, v67                                // 000000005268: D1CB0043 050E090B
	v_mul_f32_dpp v6, v25, v41 row_newbcast:0 row_mask:0xf bank_mask:0xf// 000000005270: 0A0C52FA FF015019
	v_mfma_f32_16x16x32_fp8_fp8 v[8:11], a[112:113], a[8:9], 0 // 000000005278: D3F30008 1A021170
	v_mfma_f32_16x16x32_fp8_fp8 v[8:11], a[114:115], a[10:11], v[8:11]// 000000005280: D3F30008 1C221572
	buffer_load_dwordx4 a[104:107], v61, s[24:27], 0 offen     // 000000005288: E05C1000 8086683D
	v_mfma_f32_16x16x32_fp8_fp8 v[8:11], a[116:117], a[12:13], v[8:11]// 000000005290: D3F30008 1C221974
	v_mfma_f32_16x16x32_fp8_fp8 v[8:11], a[118:119], a[14:15], v[8:11]// 000000005298: D3F30008 1C221D76
	v_fma_f32 v84, v12, v4, v84                                // 0000000052A0: D1CB0054 0552090C
	v_fma_f32 v85, v13, v4, v85                                // 0000000052A8: D1CB0055 0556090D
	v_fma_f32 v86, v14, v4, v86                                // 0000000052B0: D1CB0056 055A090E
	v_fma_f32 v87, v15, v4, v87                                // 0000000052B8: D1CB0057 055E090F
	v_mfma_f32_16x16x32_fp8_fp8 v[12:15], a[120:121], a[8:9], 0// 0000000052C0: D3F3000C 1A021178
	v_mfma_f32_16x16x32_fp8_fp8 v[12:15], a[122:123], a[10:11], v[12:15]// 0000000052C8: D3F3000C 1C32157A
	buffer_load_dwordx4 a[108:111], v61, s[24:27], 0 offen offset:1024// 0000000052D0: E05C1400 80866C3D
	buffer_load_dword v50, s[20:23], 0 offen lds               // 0000000052D8: E0511000 80050032
	s_add_u32 m0, 0x100, s48                                   // 0000000052E0: 807C30FF 00000100
	v_mfma_f32_16x16x32_fp8_fp8 v[12:15], a[124:125], a[12:13], v[12:15]// 0000000052E8: D3F3000C 1C32197C
	v_mfma_f32_16x16x32_fp8_fp8 v[12:15], a[126:127], a[14:15], v[12:15]// 0000000052F0: D3F3000C 1C321D7E
	buffer_load_dword v51, s[20:23], 0 offen lds               // 0000000052F8: E0511000 80050033
	s_add_u32 m0, 0x200, s48                                   // 000000005300: 807C30FF 00000200
	v_fma_f32 v68, v8, v6, v68                                 // 000000005308: D1CB0044 05120D08
	v_fma_f32 v69, v9, v6, v69                                 // 000000005310: D1CB0045 05160D09
	v_fma_f32 v70, v10, v6, v70                                // 000000005318: D1CB0046 051A0D0A
	v_fma_f32 v71, v11, v6, v71                                // 000000005320: D1CB0047 051E0D0B
	v_mul_f32_dpp v4, v25, v42 row_newbcast:0 row_mask:0xf bank_mask:0xf// 000000005328: 0A0854FA FF015019
	v_mfma_f32_16x16x32_fp8_fp8 v[8:11], a[112:113], a[16:17], 0// 000000005330: D3F30008 1A022170
	v_mfma_f32_16x16x32_fp8_fp8 v[8:11], a[114:115], a[18:19], v[8:11]// 000000005338: D3F30008 1C222572
	buffer_load_dword v52, s[20:23], 0 offen lds               // 000000005340: E0511000 80050034
	s_add_u32 m0, 0x300, s48                                   // 000000005348: 807C30FF 00000300
	v_mfma_f32_16x16x32_fp8_fp8 v[8:11], a[116:117], a[20:21], v[8:11]// 000000005350: D3F30008 1C222974
	v_mfma_f32_16x16x32_fp8_fp8 v[8:11], a[118:119], a[22:23], v[8:11]// 000000005358: D3F30008 1C222D76
	buffer_load_dword v53, s[20:23], 0 offen lds               // 000000005360: E0511000 80050035
	s_add_u32 m0, 0x400, s48                                   // 000000005368: 807C30FF 00000400
	v_fma_f32 v88, v12, v6, v88                                // 000000005370: D1CB0058 05620D0C
	v_fma_f32 v89, v13, v6, v89                                // 000000005378: D1CB0059 05660D0D
	v_fma_f32 v90, v14, v6, v90                                // 000000005380: D1CB005A 056A0D0E
	v_fma_f32 v91, v15, v6, v91                                // 000000005388: D1CB005B 056E0D0F
	v_mfma_f32_16x16x32_fp8_fp8 v[12:15], a[120:121], a[16:17], 0// 000000005390: D3F3000C 1A022178
	v_mfma_f32_16x16x32_fp8_fp8 v[12:15], a[122:123], a[18:19], v[12:15]// 000000005398: D3F3000C 1C32257A
	buffer_load_dword v54, s[20:23], 0 offen lds               // 0000000053A0: E0511000 80050036
	s_add_u32 m0, 0x500, s48                                   // 0000000053A8: 807C30FF 00000500
	v_mfma_f32_16x16x32_fp8_fp8 v[12:15], a[124:125], a[20:21], v[12:15]// 0000000053B0: D3F3000C 1C32297C
	v_mfma_f32_16x16x32_fp8_fp8 v[12:15], a[126:127], a[22:23], v[12:15]// 0000000053B8: D3F3000C 1C322D7E
	buffer_load_dword v55, s[20:23], 0 offen lds               // 0000000053C0: E0511000 80050037
	s_add_u32 m0, 0x600, s48                                   // 0000000053C8: 807C30FF 00000600
	v_fma_f32 v72, v8, v4, v72                                 // 0000000053D0: D1CB0048 05220908
	v_fma_f32 v73, v9, v4, v73                                 // 0000000053D8: D1CB0049 05260909
	v_fma_f32 v74, v10, v4, v74                                // 0000000053E0: D1CB004A 052A090A
	v_fma_f32 v75, v11, v4, v75                                // 0000000053E8: D1CB004B 052E090B
	v_mul_f32_dpp v6, v25, v43 row_newbcast:0 row_mask:0xf bank_mask:0xf// 0000000053F0: 0A0C56FA FF015019
	v_mfma_f32_16x16x32_fp8_fp8 v[8:11], a[112:113], a[24:25], 0// 0000000053F8: D3F30008 1A023170
	v_mfma_f32_16x16x32_fp8_fp8 v[8:11], a[114:115], a[26:27], v[8:11]// 000000005400: D3F30008 1C223572
	buffer_load_dword v56, s[20:23], 0 offen lds               // 000000005408: E0511000 80050038
	s_add_u32 m0, 0x700, s48                                   // 000000005410: 807C30FF 00000700
	v_mfma_f32_16x16x32_fp8_fp8 v[8:11], a[116:117], a[28:29], v[8:11]// 000000005418: D3F30008 1C223974
	v_mfma_f32_16x16x32_fp8_fp8 v[8:11], a[118:119], a[30:31], v[8:11]// 000000005420: D3F30008 1C223D76
	buffer_load_dword v57, s[20:23], 0 offen lds               // 000000005428: E0511000 80050039
	s_add_u32 m0, 0x800, s48                                   // 000000005430: 807C30FF 00000800
	v_fma_f32 v92, v12, v4, v92                                // 000000005438: D1CB005C 0572090C
	v_fma_f32 v93, v13, v4, v93                                // 000000005440: D1CB005D 0576090D
	v_fma_f32 v94, v14, v4, v94                                // 000000005448: D1CB005E 057A090E
	v_fma_f32 v95, v15, v4, v95                                // 000000005450: D1CB005F 057E090F
	v_mfma_f32_16x16x32_fp8_fp8 v[12:15], a[120:121], a[24:25], 0// 000000005458: D3F3000C 1A023178
	v_mfma_f32_16x16x32_fp8_fp8 v[12:15], a[122:123], a[26:27], v[12:15]// 000000005460: D3F3000C 1C32357A
	buffer_load_dword v58, s[20:23], 0 offen lds               // 000000005468: E0511000 8005003A
	s_add_u32 m0, 0x900, s48                                   // 000000005470: 807C30FF 00000900
	v_mfma_f32_16x16x32_fp8_fp8 v[12:15], a[124:125], a[28:29], v[12:15]// 000000005478: D3F3000C 1C32397C
	v_mfma_f32_16x16x32_fp8_fp8 v[12:15], a[126:127], a[30:31], v[12:15]// 000000005480: D3F3000C 1C323D7E
	buffer_load_dword v59, s[20:23], 0 offen lds               // 000000005488: E0511000 8005003B
	s_add_u32 m0, 0, s49                                       // 000000005490: 807C3180
	v_fma_f32 v76, v8, v6, v76                                 // 000000005494: D1CB004C 05320D08
	v_fma_f32 v77, v9, v6, v77                                 // 00000000549C: D1CB004D 05360D09
	v_fma_f32 v78, v10, v6, v78                                // 0000000054A4: D1CB004E 053A0D0A
	v_fma_f32 v79, v11, v6, v79                                // 0000000054AC: D1CB004F 053E0D0B
	v_mul_f32_dpp v4, v25, v44 row_newbcast:0 row_mask:0xf bank_mask:0xf// 0000000054B4: 0A0858FA FF015019
	v_mfma_f32_16x16x32_fp8_fp8 v[8:11], a[112:113], a[32:33], 0// 0000000054BC: D3F30008 1A024170
	v_mfma_f32_16x16x32_fp8_fp8 v[8:11], a[114:115], a[34:35], v[8:11]// 0000000054C4: D3F30008 1C224572
	buffer_load_dword v35, v30, s[28:31], 0 offen              // 0000000054CC: E0501000 8007231E
	v_mfma_f32_16x16x32_fp8_fp8 v[8:11], a[116:117], a[36:37], v[8:11]// 0000000054D4: D3F30008 1C224974
	v_mfma_f32_16x16x32_fp8_fp8 v[8:11], a[118:119], a[38:39], v[8:11]// 0000000054DC: D3F30008 1C224D76
	buffer_load_dword v36, v31, s[28:31], 0 offen              // 0000000054E4: E0501000 8007241F
	v_fma_f32 v96, v12, v6, v96                                // 0000000054EC: D1CB0060 05820D0C
	v_fma_f32 v97, v13, v6, v97                                // 0000000054F4: D1CB0061 05860D0D
	v_fma_f32 v98, v14, v6, v98                                // 0000000054FC: D1CB0062 058A0D0E
	v_fma_f32 v99, v15, v6, v99                                // 000000005504: D1CB0063 058E0D0F
	v_mfma_f32_16x16x32_fp8_fp8 v[12:15], a[120:121], a[32:33], 0// 00000000550C: D3F3000C 1A024178
	v_mfma_f32_16x16x32_fp8_fp8 v[12:15], a[122:123], a[34:35], v[12:15]// 000000005514: D3F3000C 1C32457A
	buffer_load_dword v37, v32, s[28:31], 0 offen              // 00000000551C: E0501000 80072520
	v_mfma_f32_16x16x32_fp8_fp8 v[12:15], a[124:125], a[36:37], v[12:15]// 000000005524: D3F3000C 1C32497C
	v_mfma_f32_16x16x32_fp8_fp8 v[12:15], a[126:127], a[38:39], v[12:15]// 00000000552C: D3F3000C 1C324D7E
	buffer_load_dword v38, v33, s[28:31], 0 offen              // 000000005534: E0501000 80072621
	v_fma_f32 v80, v8, v4, v80                                 // 00000000553C: D1CB0050 05420908
	v_fma_f32 v81, v9, v4, v81                                 // 000000005544: D1CB0051 05460909
	v_fma_f32 v82, v10, v4, v82                                // 00000000554C: D1CB0052 054A090A
	v_fma_f32 v83, v11, v4, v83                                // 000000005554: D1CB0053 054E090B
	v_fma_f32 v100, v12, v4, v100                              // 00000000555C: D1CB0064 0592090C
	v_fma_f32 v101, v13, v4, v101                              // 000000005564: D1CB0065 0596090D
	v_fma_f32 v102, v14, v4, v102                              // 00000000556C: D1CB0066 059A090E
	v_fma_f32 v103, v15, v4, v103                              // 000000005574: D1CB0067 059E090F
	buffer_load_dword v39, v34, s[28:31], 0 offen              // 00000000557C: E0501000 80072722
	s_waitcnt vmcnt(20)                                        // 000000005584: BF8C4F74
	s_barrier                                                  // 000000005588: BF8A0000
	v_mul_f32_dpp v4, v28, v40 row_newbcast:0 row_mask:0xf bank_mask:0xf// 00000000558C: 0A0850FA FF01501C
	v_mfma_f32_16x16x32_fp8_fp8 v[8:11], a[80:81], a[0:1], 0   // 000000005594: D3F30008 1A020150
	buffer_load_dword v29, v23, s[32:35], 0 offen              // 00000000559C: E0501000 80081D17
	v_mfma_f32_16x16x32_fp8_fp8 v[8:11], a[82:83], a[2:3], v[8:11]// 0000000055A4: D3F30008 1C220552
	buffer_load_dwordx4 a[112:115], v60, s[84:87], 0 offen     // 0000000055AC: E05C1000 8095703C
	v_mfma_f32_16x16x32_fp8_fp8 v[8:11], a[84:85], a[4:5], v[8:11]// 0000000055B4: D3F30008 1C220954
	v_mfma_f32_16x16x32_fp8_fp8 v[8:11], a[86:87], a[6:7], v[8:11]// 0000000055BC: D3F30008 1C220D56
	ds_read_b128 a[40:43], v2 offset:20736                     // 0000000055C4: DBFE5100 28000002
	ds_read_b128 a[44:47], v2 offset:20800                     // 0000000055CC: DBFE5140 2C000002
	v_mfma_f32_16x16x32_fp8_fp8 v[12:15], a[88:89], a[0:1], 0  // 0000000055D4: D3F3000C 1A020158
	v_mfma_f32_16x16x32_fp8_fp8 v[12:15], a[90:91], a[2:3], v[12:15]// 0000000055DC: D3F3000C 1C32055A
	buffer_load_dwordx4 a[116:119], v60, s[84:87], 0 offen offset:1024// 0000000055E4: E05C1400 8095743C
	v_mfma_f32_16x16x32_fp8_fp8 v[12:15], a[92:93], a[4:5], v[12:15]// 0000000055EC: D3F3000C 1C32095C
	v_mfma_f32_16x16x32_fp8_fp8 v[12:15], a[94:95], a[6:7], v[12:15]// 0000000055F4: D3F3000C 1C320D5E
	ds_read_b128 a[48:51], v2 offset:21248                     // 0000000055FC: DBFE5300 30000002
	ds_read_b128 a[52:55], v2 offset:21312                     // 000000005604: DBFE5340 34000002
	v_fma_f32 v104, v8, v4, v104                               // 00000000560C: D1CB0068 05A20908
	v_fma_f32 v105, v9, v4, v105                               // 000000005614: D1CB0069 05A60909
	v_fma_f32 v106, v10, v4, v106                              // 00000000561C: D1CB006A 05AA090A
	v_fma_f32 v107, v11, v4, v107                              // 000000005624: D1CB006B 05AE090B
	v_mul_f32_dpp v6, v28, v41 row_newbcast:0 row_mask:0xf bank_mask:0xf// 00000000562C: 0A0C52FA FF01501C
	v_mfma_f32_16x16x32_fp8_fp8 v[8:11], a[80:81], a[8:9], 0   // 000000005634: D3F30008 1A021150
	v_mfma_f32_16x16x32_fp8_fp8 v[8:11], a[82:83], a[10:11], v[8:11]// 00000000563C: D3F30008 1C221552
	buffer_load_dwordx4 a[120:123], v61, s[84:87], 0 offen     // 000000005644: E05C1000 8095783D
	v_mfma_f32_16x16x32_fp8_fp8 v[8:11], a[84:85], a[12:13], v[8:11]// 00000000564C: D3F30008 1C221954
	v_mfma_f32_16x16x32_fp8_fp8 v[8:11], a[86:87], a[14:15], v[8:11]// 000000005654: D3F30008 1C221D56
	ds_read_b128 a[56:59], v2 offset:21760                     // 00000000565C: DBFE5500 38000002
	ds_read_b128 a[60:63], v2 offset:21824                     // 000000005664: DBFE5540 3C000002
	v_fma_f32 v124, v12, v4, v124                              // 00000000566C: D1CB007C 05F2090C
	v_fma_f32 v125, v13, v4, v125                              // 000000005674: D1CB007D 05F6090D
	v_fma_f32 v126, v14, v4, v126                              // 00000000567C: D1CB007E 05FA090E
	v_fma_f32 v127, v15, v4, v127                              // 000000005684: D1CB007F 05FE090F
	v_mfma_f32_16x16x32_fp8_fp8 v[12:15], a[88:89], a[8:9], 0  // 00000000568C: D3F3000C 1A021158
	v_mfma_f32_16x16x32_fp8_fp8 v[12:15], a[90:91], a[10:11], v[12:15]// 000000005694: D3F3000C 1C32155A
	buffer_load_dwordx4 a[124:127], v61, s[84:87], 0 offen offset:1024// 00000000569C: E05C1400 80957C3D
	v_mfma_f32_16x16x32_fp8_fp8 v[12:15], a[92:93], a[12:13], v[12:15]// 0000000056A4: D3F3000C 1C32195C
	v_mfma_f32_16x16x32_fp8_fp8 v[12:15], a[94:95], a[14:15], v[12:15]// 0000000056AC: D3F3000C 1C321D5E
	ds_read_b128 a[64:67], v2 offset:22272                     // 0000000056B4: DBFE5700 40000002
	ds_read_b128 a[68:71], v2 offset:22336                     // 0000000056BC: DBFE5740 44000002
	v_fma_f32 v108, v8, v6, v108                               // 0000000056C4: D1CB006C 05B20D08
	v_fma_f32 v109, v9, v6, v109                               // 0000000056CC: D1CB006D 05B60D09
	v_fma_f32 v110, v10, v6, v110                              // 0000000056D4: D1CB006E 05BA0D0A
	v_fma_f32 v111, v11, v6, v111                              // 0000000056DC: D1CB006F 05BE0D0B
	v_mul_f32_dpp v4, v28, v42 row_newbcast:0 row_mask:0xf bank_mask:0xf// 0000000056E4: 0A0854FA FF01501C
	v_mfma_f32_16x16x32_fp8_fp8 v[8:11], a[80:81], a[16:17], 0 // 0000000056EC: D3F30008 1A022150
	v_mfma_f32_16x16x32_fp8_fp8 v[8:11], a[82:83], a[18:19], v[8:11]// 0000000056F4: D3F30008 1C222552
	v_mfma_f32_16x16x32_fp8_fp8 v[8:11], a[84:85], a[20:21], v[8:11]// 0000000056FC: D3F30008 1C222954
	v_mfma_f32_16x16x32_fp8_fp8 v[8:11], a[86:87], a[22:23], v[8:11]// 000000005704: D3F30008 1C222D56
	ds_read_b128 a[72:75], v2 offset:22784                     // 00000000570C: DBFE5900 48000002
	ds_read_b128 a[76:79], v2 offset:22848                     // 000000005714: DBFE5940 4C000002
	v_fma_f32 v128, v12, v6, v128                              // 00000000571C: D1CB0080 06020D0C
	v_fma_f32 v129, v13, v6, v129                              // 000000005724: D1CB0081 06060D0D
	v_fma_f32 v130, v14, v6, v130                              // 00000000572C: D1CB0082 060A0D0E
	v_fma_f32 v131, v15, v6, v131                              // 000000005734: D1CB0083 060E0D0F
	v_mfma_f32_16x16x32_fp8_fp8 v[12:15], a[88:89], a[16:17], 0// 00000000573C: D3F3000C 1A022158
	v_mfma_f32_16x16x32_fp8_fp8 v[12:15], a[90:91], a[18:19], v[12:15]// 000000005744: D3F3000C 1C32255A
	v_mfma_f32_16x16x32_fp8_fp8 v[12:15], a[92:93], a[20:21], v[12:15]// 00000000574C: D3F3000C 1C32295C
	v_mfma_f32_16x16x32_fp8_fp8 v[12:15], a[94:95], a[22:23], v[12:15]// 000000005754: D3F3000C 1C322D5E
	v_fma_f32 v112, v8, v4, v112                               // 00000000575C: D1CB0070 05C20908
	v_fma_f32 v113, v9, v4, v113                               // 000000005764: D1CB0071 05C60909
	v_fma_f32 v114, v10, v4, v114                              // 00000000576C: D1CB0072 05CA090A
	v_fma_f32 v115, v11, v4, v115                              // 000000005774: D1CB0073 05CE090B
	v_mul_f32_dpp v6, v28, v43 row_newbcast:0 row_mask:0xf bank_mask:0xf// 00000000577C: 0A0C56FA FF01501C
	v_mfma_f32_16x16x32_fp8_fp8 v[8:11], a[80:81], a[24:25], 0 // 000000005784: D3F30008 1A023150
	v_mfma_f32_16x16x32_fp8_fp8 v[8:11], a[82:83], a[26:27], v[8:11]// 00000000578C: D3F30008 1C223552
	v_mfma_f32_16x16x32_fp8_fp8 v[8:11], a[84:85], a[28:29], v[8:11]// 000000005794: D3F30008 1C223954
	v_mfma_f32_16x16x32_fp8_fp8 v[8:11], a[86:87], a[30:31], v[8:11]// 00000000579C: D3F30008 1C223D56
	v_fma_f32 v132, v12, v4, v132                              // 0000000057A4: D1CB0084 0612090C
	v_fma_f32 v133, v13, v4, v133                              // 0000000057AC: D1CB0085 0616090D
	v_fma_f32 v134, v14, v4, v134                              // 0000000057B4: D1CB0086 061A090E
	v_fma_f32 v135, v15, v4, v135                              // 0000000057BC: D1CB0087 061E090F
	v_mfma_f32_16x16x32_fp8_fp8 v[12:15], a[88:89], a[24:25], 0// 0000000057C4: D3F3000C 1A023158
	v_mfma_f32_16x16x32_fp8_fp8 v[12:15], a[90:91], a[26:27], v[12:15]// 0000000057CC: D3F3000C 1C32355A
	v_mfma_f32_16x16x32_fp8_fp8 v[12:15], a[92:93], a[28:29], v[12:15]// 0000000057D4: D3F3000C 1C32395C
	v_mfma_f32_16x16x32_fp8_fp8 v[12:15], a[94:95], a[30:31], v[12:15]// 0000000057DC: D3F3000C 1C323D5E
	v_fma_f32 v116, v8, v6, v116                               // 0000000057E4: D1CB0074 05D20D08
	v_fma_f32 v117, v9, v6, v117                               // 0000000057EC: D1CB0075 05D60D09
	v_fma_f32 v118, v10, v6, v118                              // 0000000057F4: D1CB0076 05DA0D0A
	v_fma_f32 v119, v11, v6, v119                              // 0000000057FC: D1CB0077 05DE0D0B
	v_mul_f32_dpp v4, v28, v44 row_newbcast:0 row_mask:0xf bank_mask:0xf// 000000005804: 0A0858FA FF01501C
	v_mfma_f32_16x16x32_fp8_fp8 v[8:11], a[80:81], a[32:33], 0 // 00000000580C: D3F30008 1A024150
	s_add_u32 s60, 0x180, s80                                  // 000000005814: 803C50FF 00000180
	s_cmp_lt_u32 s60, s81                                      // 00000000581C: BF0A513C
	s_cselect_b32 s57, s57, 0                                  // 000000005820: 85398039
	s_cselect_b32 s3, s3, 0                                    // 000000005824: 85038003
	v_mfma_f32_16x16x32_fp8_fp8 v[8:11], a[82:83], a[34:35], v[8:11]// 000000005828: D3F30008 1C224552
	s_add_u32 s60, 0x100, s80                                  // 000000005830: 803C50FF 00000100
	s_cmp_lt_u32 s60, s81                                      // 000000005838: BF0A513C
	s_cselect_b32 s58, s58, 0                                  // 00000000583C: 853A803A
	v_mfma_f32_16x16x32_fp8_fp8 v[8:11], a[84:85], a[36:37], v[8:11]// 000000005840: D3F30008 1C224954
	s_add_u32 s60, 0x100, s80                                  // 000000005848: 803C50FF 00000100
	s_cmp_lt_u32 s60, s81                                      // 000000005850: BF0A513C
	s_cselect_b32 s83, s83, 0                                  // 000000005854: 85538053
	s_cselect_b32 s4, s4, 0                                    // 000000005858: 85048004
	v_mfma_f32_16x16x32_fp8_fp8 v[8:11], a[86:87], a[38:39], v[8:11]// 00000000585C: D3F30008 1C224D56
	s_add_u32 s24, s58, s24                                    // 000000005864: 8018183A
	s_addc_u32 s25, 0, s25                                     // 000000005868: 82191980
	v_fma_f32 v136, v12, v6, v136                              // 00000000586C: D1CB0088 06220D0C
	v_fma_f32 v137, v13, v6, v137                              // 000000005874: D1CB0089 06260D0D
	v_fma_f32 v138, v14, v6, v138                              // 00000000587C: D1CB008A 062A0D0E
	v_fma_f32 v139, v15, v6, v139                              // 000000005884: D1CB008B 062E0D0F
	v_mfma_f32_16x16x32_fp8_fp8 v[12:15], a[88:89], a[32:33], 0// 00000000588C: D3F3000C 1A024158
	s_add_u32 s20, s57, s20                                    // 000000005894: 80141439
	s_addc_u32 s21, 0, s21                                     // 000000005898: 82151580
	s_add_u32 s28, s3, s28                                     // 00000000589C: 801C1C03
	s_addc_u32 s29, 0, s29                                     // 0000000058A0: 821D1D80
	v_mfma_f32_16x16x32_fp8_fp8 v[12:15], a[90:91], a[34:35], v[12:15]// 0000000058A4: D3F3000C 1C32455A
	s_add_u32 s84, s83, s84                                    // 0000000058AC: 80545453
	s_addc_u32 s85, 0, s85                                     // 0000000058B0: 82555580
	v_mfma_f32_16x16x32_fp8_fp8 v[12:15], a[92:93], a[36:37], v[12:15]// 0000000058B4: D3F3000C 1C32495C
	s_add_u32 s32, s4, s32                                     // 0000000058BC: 80202004
	s_addc_u32 s33, 0, s33                                     // 0000000058C0: 82212180
	v_mfma_f32_16x16x32_fp8_fp8 v[12:15], a[94:95], a[38:39], v[12:15]// 0000000058C4: D3F3000C 1C324D5E
	v_fma_f32 v120, v8, v4, v120                               // 0000000058CC: D1CB0078 05E20908
	v_fma_f32 v121, v9, v4, v121                               // 0000000058D4: D1CB0079 05E60909
	v_fma_f32 v122, v10, v4, v122                              // 0000000058DC: D1CB007A 05EA090A
	v_fma_f32 v123, v11, v4, v123                              // 0000000058E4: D1CB007B 05EE090B
	v_fma_f32 v140, v12, v4, v140                              // 0000000058EC: D1CB008C 0632090C
	v_fma_f32 v141, v13, v4, v141                              // 0000000058F4: D1CB008D 0636090D
	v_fma_f32 v142, v14, v4, v142                              // 0000000058FC: D1CB008E 063A090E
	v_fma_f32 v143, v15, v4, v143                              // 000000005904: D1CB008F 063E090F
	s_addk_i32 s80, 0x80                                       // 00000000590C: B7500080
	s_cmp_lt_i32 s80, s81                                      // 000000005910: BF045150
	s_cbranch_scc0 label_0D92                                  // 000000005914: BF8401CC
	s_waitcnt vmcnt(20) lgkmcnt(0)                             // 000000005918: BF8C4074
	v_mul_f32_dpp v4, v26, v45 row_newbcast:0 row_mask:0xf bank_mask:0xf// 00000000591C: 0A085AFA FF01501A
	v_mfma_f32_16x16x32_fp8_fp8 v[8:11], a[96:97], a[40:41], 0 // 000000005924: D3F30008 1A025160
	buffer_load_dword v24, v22, s[32:35], 0 offen              // 00000000592C: E0501000 80081816
	v_mfma_f32_16x16x32_fp8_fp8 v[8:11], a[98:99], a[42:43], v[8:11]// 000000005934: D3F30008 1C225562
	buffer_load_dwordx4 a[80:83], v60, s[24:27], 0 offen       // 00000000593C: E05C1000 8086503C
	v_mfma_f32_16x16x32_fp8_fp8 v[8:11], a[100:101], a[44:45], v[8:11]// 000000005944: D3F30008 1C225964
	v_mfma_f32_16x16x32_fp8_fp8 v[8:11], a[102:103], a[46:47], v[8:11]// 00000000594C: D3F30008 1C225D66
	v_mfma_f32_16x16x32_fp8_fp8 v[12:15], a[104:105], a[40:41], 0// 000000005954: D3F3000C 1A025168
	v_mfma_f32_16x16x32_fp8_fp8 v[12:15], a[106:107], a[42:43], v[12:15]// 00000000595C: D3F3000C 1C32556A
	buffer_load_dwordx4 a[84:87], v60, s[24:27], 0 offen offset:1024// 000000005964: E05C1400 8086543C
	v_mfma_f32_16x16x32_fp8_fp8 v[12:15], a[108:109], a[44:45], v[12:15]// 00000000596C: D3F3000C 1C32596C
	v_mfma_f32_16x16x32_fp8_fp8 v[12:15], a[110:111], a[46:47], v[12:15]// 000000005974: D3F3000C 1C325D6E
	v_fma_f32 v64, v8, v4, v64                                 // 00000000597C: D1CB0040 05020908
	v_fma_f32 v65, v9, v4, v65                                 // 000000005984: D1CB0041 05060909
	v_fma_f32 v66, v10, v4, v66                                // 00000000598C: D1CB0042 050A090A
	v_fma_f32 v67, v11, v4, v67                                // 000000005994: D1CB0043 050E090B
	v_mul_f32_dpp v6, v26, v46 row_newbcast:0 row_mask:0xf bank_mask:0xf// 00000000599C: 0A0C5CFA FF01501A
	v_mfma_f32_16x16x32_fp8_fp8 v[8:11], a[96:97], a[48:49], 0 // 0000000059A4: D3F30008 1A026160
	v_mfma_f32_16x16x32_fp8_fp8 v[8:11], a[98:99], a[50:51], v[8:11]// 0000000059AC: D3F30008 1C226562
	buffer_load_dwordx4 a[88:91], v61, s[24:27], 0 offen       // 0000000059B4: E05C1000 8086583D
	v_mfma_f32_16x16x32_fp8_fp8 v[8:11], a[100:101], a[52:53], v[8:11]// 0000000059BC: D3F30008 1C226964
	v_mfma_f32_16x16x32_fp8_fp8 v[8:11], a[102:103], a[54:55], v[8:11]// 0000000059C4: D3F30008 1C226D66
	v_fma_f32 v84, v12, v4, v84                                // 0000000059CC: D1CB0054 0552090C
	v_fma_f32 v85, v13, v4, v85                                // 0000000059D4: D1CB0055 0556090D
	v_fma_f32 v86, v14, v4, v86                                // 0000000059DC: D1CB0056 055A090E
	v_fma_f32 v87, v15, v4, v87                                // 0000000059E4: D1CB0057 055E090F
	v_mfma_f32_16x16x32_fp8_fp8 v[12:15], a[104:105], a[48:49], 0// 0000000059EC: D3F3000C 1A026168
	v_mfma_f32_16x16x32_fp8_fp8 v[12:15], a[106:107], a[50:51], v[12:15]// 0000000059F4: D3F3000C 1C32656A
	buffer_load_dwordx4 a[92:95], v61, s[24:27], 0 offen offset:1024// 0000000059FC: E05C1400 80865C3D
	buffer_load_dword v50, s[20:23], 0 offen lds               // 000000005A04: E0511000 80050032
	s_add_u32 m0, 0x100, s49                                   // 000000005A0C: 807C31FF 00000100
	v_mfma_f32_16x16x32_fp8_fp8 v[12:15], a[108:109], a[52:53], v[12:15]// 000000005A14: D3F3000C 1C32696C
	v_mfma_f32_16x16x32_fp8_fp8 v[12:15], a[110:111], a[54:55], v[12:15]// 000000005A1C: D3F3000C 1C326D6E
	buffer_load_dword v51, s[20:23], 0 offen lds               // 000000005A24: E0511000 80050033
	s_add_u32 m0, 0x200, s49                                   // 000000005A2C: 807C31FF 00000200
	v_fma_f32 v68, v8, v6, v68                                 // 000000005A34: D1CB0044 05120D08
	v_fma_f32 v69, v9, v6, v69                                 // 000000005A3C: D1CB0045 05160D09
	v_fma_f32 v70, v10, v6, v70                                // 000000005A44: D1CB0046 051A0D0A
	v_fma_f32 v71, v11, v6, v71                                // 000000005A4C: D1CB0047 051E0D0B
	v_mul_f32_dpp v4, v26, v47 row_newbcast:0 row_mask:0xf bank_mask:0xf// 000000005A54: 0A085EFA FF01501A
	v_mfma_f32_16x16x32_fp8_fp8 v[8:11], a[96:97], a[56:57], 0 // 000000005A5C: D3F30008 1A027160
	v_mfma_f32_16x16x32_fp8_fp8 v[8:11], a[98:99], a[58:59], v[8:11]// 000000005A64: D3F30008 1C227562
	buffer_load_dword v52, s[20:23], 0 offen lds               // 000000005A6C: E0511000 80050034
	s_add_u32 m0, 0x300, s49                                   // 000000005A74: 807C31FF 00000300
	v_mfma_f32_16x16x32_fp8_fp8 v[8:11], a[100:101], a[60:61], v[8:11]// 000000005A7C: D3F30008 1C227964
	v_mfma_f32_16x16x32_fp8_fp8 v[8:11], a[102:103], a[62:63], v[8:11]// 000000005A84: D3F30008 1C227D66
	buffer_load_dword v53, s[20:23], 0 offen lds               // 000000005A8C: E0511000 80050035
	s_add_u32 m0, 0x400, s49                                   // 000000005A94: 807C31FF 00000400
	v_fma_f32 v88, v12, v6, v88                                // 000000005A9C: D1CB0058 05620D0C
	v_fma_f32 v89, v13, v6, v89                                // 000000005AA4: D1CB0059 05660D0D
	v_fma_f32 v90, v14, v6, v90                                // 000000005AAC: D1CB005A 056A0D0E
	v_fma_f32 v91, v15, v6, v91                                // 000000005AB4: D1CB005B 056E0D0F
	v_mfma_f32_16x16x32_fp8_fp8 v[12:15], a[104:105], a[56:57], 0// 000000005ABC: D3F3000C 1A027168
	v_mfma_f32_16x16x32_fp8_fp8 v[12:15], a[106:107], a[58:59], v[12:15]// 000000005AC4: D3F3000C 1C32756A
	buffer_load_dword v54, s[20:23], 0 offen lds               // 000000005ACC: E0511000 80050036
	s_add_u32 m0, 0x500, s49                                   // 000000005AD4: 807C31FF 00000500
	v_mfma_f32_16x16x32_fp8_fp8 v[12:15], a[108:109], a[60:61], v[12:15]// 000000005ADC: D3F3000C 1C32796C
	v_mfma_f32_16x16x32_fp8_fp8 v[12:15], a[110:111], a[62:63], v[12:15]// 000000005AE4: D3F3000C 1C327D6E
	buffer_load_dword v55, s[20:23], 0 offen lds               // 000000005AEC: E0511000 80050037
	s_add_u32 m0, 0x600, s49                                   // 000000005AF4: 807C31FF 00000600
	v_fma_f32 v72, v8, v4, v72                                 // 000000005AFC: D1CB0048 05220908
	v_fma_f32 v73, v9, v4, v73                                 // 000000005B04: D1CB0049 05260909
	v_fma_f32 v74, v10, v4, v74                                // 000000005B0C: D1CB004A 052A090A
	v_fma_f32 v75, v11, v4, v75                                // 000000005B14: D1CB004B 052E090B
	v_mul_f32_dpp v6, v26, v48 row_newbcast:0 row_mask:0xf bank_mask:0xf// 000000005B1C: 0A0C60FA FF01501A
	v_mfma_f32_16x16x32_fp8_fp8 v[8:11], a[96:97], a[64:65], 0 // 000000005B24: D3F30008 1A028160
	v_mfma_f32_16x16x32_fp8_fp8 v[8:11], a[98:99], a[66:67], v[8:11]// 000000005B2C: D3F30008 1C228562
	buffer_load_dword v56, s[20:23], 0 offen lds               // 000000005B34: E0511000 80050038
	s_add_u32 m0, 0x700, s49                                   // 000000005B3C: 807C31FF 00000700
	v_mfma_f32_16x16x32_fp8_fp8 v[8:11], a[100:101], a[68:69], v[8:11]// 000000005B44: D3F30008 1C228964
	v_mfma_f32_16x16x32_fp8_fp8 v[8:11], a[102:103], a[70:71], v[8:11]// 000000005B4C: D3F30008 1C228D66
	buffer_load_dword v57, s[20:23], 0 offen lds               // 000000005B54: E0511000 80050039
	s_add_u32 m0, 0x800, s49                                   // 000000005B5C: 807C31FF 00000800
	v_fma_f32 v92, v12, v4, v92                                // 000000005B64: D1CB005C 0572090C
	v_fma_f32 v93, v13, v4, v93                                // 000000005B6C: D1CB005D 0576090D
	v_fma_f32 v94, v14, v4, v94                                // 000000005B74: D1CB005E 057A090E
	v_fma_f32 v95, v15, v4, v95                                // 000000005B7C: D1CB005F 057E090F
	v_mfma_f32_16x16x32_fp8_fp8 v[12:15], a[104:105], a[64:65], 0// 000000005B84: D3F3000C 1A028168
	v_mfma_f32_16x16x32_fp8_fp8 v[12:15], a[106:107], a[66:67], v[12:15]// 000000005B8C: D3F3000C 1C32856A
	buffer_load_dword v58, s[20:23], 0 offen lds               // 000000005B94: E0511000 8005003A
	s_add_u32 m0, 0x900, s49                                   // 000000005B9C: 807C31FF 00000900
	v_mfma_f32_16x16x32_fp8_fp8 v[12:15], a[108:109], a[68:69], v[12:15]// 000000005BA4: D3F3000C 1C32896C
	v_mfma_f32_16x16x32_fp8_fp8 v[12:15], a[110:111], a[70:71], v[12:15]// 000000005BAC: D3F3000C 1C328D6E
	buffer_load_dword v59, s[20:23], 0 offen lds               // 000000005BB4: E0511000 8005003B
	s_add_u32 m0, 0, s50                                       // 000000005BBC: 807C3280
	v_fma_f32 v76, v8, v6, v76                                 // 000000005BC0: D1CB004C 05320D08
	v_fma_f32 v77, v9, v6, v77                                 // 000000005BC8: D1CB004D 05360D09
	v_fma_f32 v78, v10, v6, v78                                // 000000005BD0: D1CB004E 053A0D0A
	v_fma_f32 v79, v11, v6, v79                                // 000000005BD8: D1CB004F 053E0D0B
	v_mul_f32_dpp v4, v26, v49 row_newbcast:0 row_mask:0xf bank_mask:0xf// 000000005BE0: 0A0862FA FF01501A
	v_mfma_f32_16x16x32_fp8_fp8 v[8:11], a[96:97], a[72:73], 0 // 000000005BE8: D3F30008 1A029160
	v_mfma_f32_16x16x32_fp8_fp8 v[8:11], a[98:99], a[74:75], v[8:11]// 000000005BF0: D3F30008 1C229562
	buffer_load_dword v40, v30, s[28:31], 0 offen              // 000000005BF8: E0501000 8007281E
	v_mfma_f32_16x16x32_fp8_fp8 v[8:11], a[100:101], a[76:77], v[8:11]// 000000005C00: D3F30008 1C229964
	v_mfma_f32_16x16x32_fp8_fp8 v[8:11], a[102:103], a[78:79], v[8:11]// 000000005C08: D3F30008 1C229D66
	buffer_load_dword v41, v31, s[28:31], 0 offen              // 000000005C10: E0501000 8007291F
	v_fma_f32 v96, v12, v6, v96                                // 000000005C18: D1CB0060 05820D0C
	v_fma_f32 v97, v13, v6, v97                                // 000000005C20: D1CB0061 05860D0D
	v_fma_f32 v98, v14, v6, v98                                // 000000005C28: D1CB0062 058A0D0E
	v_fma_f32 v99, v15, v6, v99                                // 000000005C30: D1CB0063 058E0D0F
	v_mfma_f32_16x16x32_fp8_fp8 v[12:15], a[104:105], a[72:73], 0// 000000005C38: D3F3000C 1A029168
	v_mfma_f32_16x16x32_fp8_fp8 v[12:15], a[106:107], a[74:75], v[12:15]// 000000005C40: D3F3000C 1C32956A
	buffer_load_dword v42, v32, s[28:31], 0 offen              // 000000005C48: E0501000 80072A20
	v_mfma_f32_16x16x32_fp8_fp8 v[12:15], a[108:109], a[76:77], v[12:15]// 000000005C50: D3F3000C 1C32996C
	v_mfma_f32_16x16x32_fp8_fp8 v[12:15], a[110:111], a[78:79], v[12:15]// 000000005C58: D3F3000C 1C329D6E
	buffer_load_dword v43, v33, s[28:31], 0 offen              // 000000005C60: E0501000 80072B21
	v_fma_f32 v80, v8, v4, v80                                 // 000000005C68: D1CB0050 05420908
	v_fma_f32 v81, v9, v4, v81                                 // 000000005C70: D1CB0051 05460909
	v_fma_f32 v82, v10, v4, v82                                // 000000005C78: D1CB0052 054A090A
	v_fma_f32 v83, v11, v4, v83                                // 000000005C80: D1CB0053 054E090B
	v_fma_f32 v100, v12, v4, v100                              // 000000005C88: D1CB0064 0592090C
	v_fma_f32 v101, v13, v4, v101                              // 000000005C90: D1CB0065 0596090D
	v_fma_f32 v102, v14, v4, v102                              // 000000005C98: D1CB0066 059A090E
	v_fma_f32 v103, v15, v4, v103                              // 000000005CA0: D1CB0067 059E090F
	buffer_load_dword v44, v34, s[28:31], 0 offen              // 000000005CA8: E0501000 80072C22
	s_waitcnt vmcnt(20)                                        // 000000005CB0: BF8C4F74
	s_barrier                                                  // 000000005CB4: BF8A0000
	v_mul_f32_dpp v4, v29, v45 row_newbcast:0 row_mask:0xf bank_mask:0xf// 000000005CB8: 0A085AFA FF01501D
	v_mfma_f32_16x16x32_fp8_fp8 v[8:11], a[112:113], a[40:41], 0// 000000005CC0: D3F30008 1A025170
	buffer_load_dword v27, v23, s[32:35], 0 offen              // 000000005CC8: E0501000 80081B17
	v_mfma_f32_16x16x32_fp8_fp8 v[8:11], a[114:115], a[42:43], v[8:11]// 000000005CD0: D3F30008 1C225572
	buffer_load_dwordx4 a[96:99], v60, s[84:87], 0 offen       // 000000005CD8: E05C1000 8095603C
	v_mfma_f32_16x16x32_fp8_fp8 v[8:11], a[116:117], a[44:45], v[8:11]// 000000005CE0: D3F30008 1C225974
	v_mfma_f32_16x16x32_fp8_fp8 v[8:11], a[118:119], a[46:47], v[8:11]// 000000005CE8: D3F30008 1C225D76
	ds_read_b128 a[0:3], v2                                    // 000000005CF0: DBFE0000 00000002
	ds_read_b128 a[4:7], v2 offset:64                          // 000000005CF8: DBFE0040 04000002
	v_mfma_f32_16x16x32_fp8_fp8 v[12:15], a[120:121], a[40:41], 0// 000000005D00: D3F3000C 1A025178
	v_mfma_f32_16x16x32_fp8_fp8 v[12:15], a[122:123], a[42:43], v[12:15]// 000000005D08: D3F3000C 1C32557A
	buffer_load_dwordx4 a[100:103], v60, s[84:87], 0 offen offset:1024// 000000005D10: E05C1400 8095643C
	v_mfma_f32_16x16x32_fp8_fp8 v[12:15], a[124:125], a[44:45], v[12:15]// 000000005D18: D3F3000C 1C32597C
	v_mfma_f32_16x16x32_fp8_fp8 v[12:15], a[126:127], a[46:47], v[12:15]// 000000005D20: D3F3000C 1C325D7E
	ds_read_b128 a[8:11], v2 offset:512                        // 000000005D28: DBFE0200 08000002
	ds_read_b128 a[12:15], v2 offset:576                       // 000000005D30: DBFE0240 0C000002
	v_fma_f32 v104, v8, v4, v104                               // 000000005D38: D1CB0068 05A20908
	v_fma_f32 v105, v9, v4, v105                               // 000000005D40: D1CB0069 05A60909
	v_fma_f32 v106, v10, v4, v106                              // 000000005D48: D1CB006A 05AA090A
	v_fma_f32 v107, v11, v4, v107                              // 000000005D50: D1CB006B 05AE090B
	v_mul_f32_dpp v6, v29, v46 row_newbcast:0 row_mask:0xf bank_mask:0xf// 000000005D58: 0A0C5CFA FF01501D
	v_mfma_f32_16x16x32_fp8_fp8 v[8:11], a[112:113], a[48:49], 0// 000000005D60: D3F30008 1A026170
	v_mfma_f32_16x16x32_fp8_fp8 v[8:11], a[114:115], a[50:51], v[8:11]// 000000005D68: D3F30008 1C226572
	buffer_load_dwordx4 a[104:107], v61, s[84:87], 0 offen     // 000000005D70: E05C1000 8095683D
	v_mfma_f32_16x16x32_fp8_fp8 v[8:11], a[116:117], a[52:53], v[8:11]// 000000005D78: D3F30008 1C226974
	v_mfma_f32_16x16x32_fp8_fp8 v[8:11], a[118:119], a[54:55], v[8:11]// 000000005D80: D3F30008 1C226D76
	ds_read_b128 a[16:19], v2 offset:1024                      // 000000005D88: DBFE0400 10000002
	ds_read_b128 a[20:23], v2 offset:1088                      // 000000005D90: DBFE0440 14000002
	v_fma_f32 v124, v12, v4, v124                              // 000000005D98: D1CB007C 05F2090C
	v_fma_f32 v125, v13, v4, v125                              // 000000005DA0: D1CB007D 05F6090D
	v_fma_f32 v126, v14, v4, v126                              // 000000005DA8: D1CB007E 05FA090E
	v_fma_f32 v127, v15, v4, v127                              // 000000005DB0: D1CB007F 05FE090F
	v_mfma_f32_16x16x32_fp8_fp8 v[12:15], a[120:121], a[48:49], 0// 000000005DB8: D3F3000C 1A026178
	v_mfma_f32_16x16x32_fp8_fp8 v[12:15], a[122:123], a[50:51], v[12:15]// 000000005DC0: D3F3000C 1C32657A
	buffer_load_dwordx4 a[108:111], v61, s[84:87], 0 offen offset:1024// 000000005DC8: E05C1400 80956C3D
	v_mfma_f32_16x16x32_fp8_fp8 v[12:15], a[124:125], a[52:53], v[12:15]// 000000005DD0: D3F3000C 1C32697C
	v_mfma_f32_16x16x32_fp8_fp8 v[12:15], a[126:127], a[54:55], v[12:15]// 000000005DD8: D3F3000C 1C326D7E
	ds_read_b128 a[24:27], v2 offset:1536                      // 000000005DE0: DBFE0600 18000002
	ds_read_b128 a[28:31], v2 offset:1600                      // 000000005DE8: DBFE0640 1C000002
	v_fma_f32 v108, v8, v6, v108                               // 000000005DF0: D1CB006C 05B20D08
	v_fma_f32 v109, v9, v6, v109                               // 000000005DF8: D1CB006D 05B60D09
	v_fma_f32 v110, v10, v6, v110                              // 000000005E00: D1CB006E 05BA0D0A
	v_fma_f32 v111, v11, v6, v111                              // 000000005E08: D1CB006F 05BE0D0B
	v_mul_f32_dpp v4, v29, v47 row_newbcast:0 row_mask:0xf bank_mask:0xf// 000000005E10: 0A085EFA FF01501D
	v_mfma_f32_16x16x32_fp8_fp8 v[8:11], a[112:113], a[56:57], 0// 000000005E18: D3F30008 1A027170
	v_mfma_f32_16x16x32_fp8_fp8 v[8:11], a[114:115], a[58:59], v[8:11]// 000000005E20: D3F30008 1C227572
	v_mfma_f32_16x16x32_fp8_fp8 v[8:11], a[116:117], a[60:61], v[8:11]// 000000005E28: D3F30008 1C227974
	v_mfma_f32_16x16x32_fp8_fp8 v[8:11], a[118:119], a[62:63], v[8:11]// 000000005E30: D3F30008 1C227D76
	ds_read_b128 a[32:35], v2 offset:2048                      // 000000005E38: DBFE0800 20000002
	ds_read_b128 a[36:39], v2 offset:2112                      // 000000005E40: DBFE0840 24000002
	v_fma_f32 v128, v12, v6, v128                              // 000000005E48: D1CB0080 06020D0C
	v_fma_f32 v129, v13, v6, v129                              // 000000005E50: D1CB0081 06060D0D
	v_fma_f32 v130, v14, v6, v130                              // 000000005E58: D1CB0082 060A0D0E
	v_fma_f32 v131, v15, v6, v131                              // 000000005E60: D1CB0083 060E0D0F
	v_mfma_f32_16x16x32_fp8_fp8 v[12:15], a[120:121], a[56:57], 0// 000000005E68: D3F3000C 1A027178
	v_mfma_f32_16x16x32_fp8_fp8 v[12:15], a[122:123], a[58:59], v[12:15]// 000000005E70: D3F3000C 1C32757A
	v_mfma_f32_16x16x32_fp8_fp8 v[12:15], a[124:125], a[60:61], v[12:15]// 000000005E78: D3F3000C 1C32797C
	v_mfma_f32_16x16x32_fp8_fp8 v[12:15], a[126:127], a[62:63], v[12:15]// 000000005E80: D3F3000C 1C327D7E
	v_fma_f32 v112, v8, v4, v112                               // 000000005E88: D1CB0070 05C20908
	v_fma_f32 v113, v9, v4, v113                               // 000000005E90: D1CB0071 05C60909
	v_fma_f32 v114, v10, v4, v114                              // 000000005E98: D1CB0072 05CA090A
	v_fma_f32 v115, v11, v4, v115                              // 000000005EA0: D1CB0073 05CE090B
	v_mul_f32_dpp v6, v29, v48 row_newbcast:0 row_mask:0xf bank_mask:0xf// 000000005EA8: 0A0C60FA FF01501D
	v_mfma_f32_16x16x32_fp8_fp8 v[8:11], a[112:113], a[64:65], 0// 000000005EB0: D3F30008 1A028170
	v_mfma_f32_16x16x32_fp8_fp8 v[8:11], a[114:115], a[66:67], v[8:11]// 000000005EB8: D3F30008 1C228572
	v_mfma_f32_16x16x32_fp8_fp8 v[8:11], a[116:117], a[68:69], v[8:11]// 000000005EC0: D3F30008 1C228974
	v_mfma_f32_16x16x32_fp8_fp8 v[8:11], a[118:119], a[70:71], v[8:11]// 000000005EC8: D3F30008 1C228D76
	v_fma_f32 v132, v12, v4, v132                              // 000000005ED0: D1CB0084 0612090C
	v_fma_f32 v133, v13, v4, v133                              // 000000005ED8: D1CB0085 0616090D
	v_fma_f32 v134, v14, v4, v134                              // 000000005EE0: D1CB0086 061A090E
	v_fma_f32 v135, v15, v4, v135                              // 000000005EE8: D1CB0087 061E090F
	v_mfma_f32_16x16x32_fp8_fp8 v[12:15], a[120:121], a[64:65], 0// 000000005EF0: D3F3000C 1A028178
	v_mfma_f32_16x16x32_fp8_fp8 v[12:15], a[122:123], a[66:67], v[12:15]// 000000005EF8: D3F3000C 1C32857A
	v_mfma_f32_16x16x32_fp8_fp8 v[12:15], a[124:125], a[68:69], v[12:15]// 000000005F00: D3F3000C 1C32897C
	v_mfma_f32_16x16x32_fp8_fp8 v[12:15], a[126:127], a[70:71], v[12:15]// 000000005F08: D3F3000C 1C328D7E
	v_fma_f32 v116, v8, v6, v116                               // 000000005F10: D1CB0074 05D20D08
	v_fma_f32 v117, v9, v6, v117                               // 000000005F18: D1CB0075 05D60D09
	v_fma_f32 v118, v10, v6, v118                              // 000000005F20: D1CB0076 05DA0D0A
	v_fma_f32 v119, v11, v6, v119                              // 000000005F28: D1CB0077 05DE0D0B
	v_mul_f32_dpp v4, v29, v49 row_newbcast:0 row_mask:0xf bank_mask:0xf// 000000005F30: 0A0862FA FF01501D
	v_mfma_f32_16x16x32_fp8_fp8 v[8:11], a[112:113], a[72:73], 0// 000000005F38: D3F30008 1A029170
	s_add_u32 s60, 0x180, s80                                  // 000000005F40: 803C50FF 00000180
	s_cmp_lt_u32 s60, s81                                      // 000000005F48: BF0A513C
	s_cselect_b32 s57, s57, 0                                  // 000000005F4C: 85398039
	s_cselect_b32 s3, s3, 0                                    // 000000005F50: 85038003
	v_mfma_f32_16x16x32_fp8_fp8 v[8:11], a[114:115], a[74:75], v[8:11]// 000000005F54: D3F30008 1C229572
	s_add_u32 s60, 0x100, s80                                  // 000000005F5C: 803C50FF 00000100
	s_cmp_lt_u32 s60, s81                                      // 000000005F64: BF0A513C
	s_cselect_b32 s58, s58, 0                                  // 000000005F68: 853A803A
	v_mfma_f32_16x16x32_fp8_fp8 v[8:11], a[116:117], a[76:77], v[8:11]// 000000005F6C: D3F30008 1C229974
	s_add_u32 s60, 0x100, s80                                  // 000000005F74: 803C50FF 00000100
	s_cmp_lt_u32 s60, s81                                      // 000000005F7C: BF0A513C
	s_cselect_b32 s83, s83, 0                                  // 000000005F80: 85538053
	s_cselect_b32 s4, s4, 0                                    // 000000005F84: 85048004
	v_mfma_f32_16x16x32_fp8_fp8 v[8:11], a[118:119], a[78:79], v[8:11]// 000000005F88: D3F30008 1C229D76
	s_add_u32 s24, s58, s24                                    // 000000005F90: 8018183A
	s_addc_u32 s25, 0, s25                                     // 000000005F94: 82191980
	v_fma_f32 v136, v12, v6, v136                              // 000000005F98: D1CB0088 06220D0C
	v_fma_f32 v137, v13, v6, v137                              // 000000005FA0: D1CB0089 06260D0D
	v_fma_f32 v138, v14, v6, v138                              // 000000005FA8: D1CB008A 062A0D0E
	v_fma_f32 v139, v15, v6, v139                              // 000000005FB0: D1CB008B 062E0D0F
	v_mfma_f32_16x16x32_fp8_fp8 v[12:15], a[120:121], a[72:73], 0// 000000005FB8: D3F3000C 1A029178
	s_add_u32 s20, s57, s20                                    // 000000005FC0: 80141439
	s_addc_u32 s21, 0, s21                                     // 000000005FC4: 82151580
	s_add_u32 s28, s3, s28                                     // 000000005FC8: 801C1C03
	s_addc_u32 s29, 0, s29                                     // 000000005FCC: 821D1D80
	v_mfma_f32_16x16x32_fp8_fp8 v[12:15], a[122:123], a[74:75], v[12:15]// 000000005FD0: D3F3000C 1C32957A
	s_add_u32 s84, s83, s84                                    // 000000005FD8: 80545453
	s_addc_u32 s85, 0, s85                                     // 000000005FDC: 82555580
	v_mfma_f32_16x16x32_fp8_fp8 v[12:15], a[124:125], a[76:77], v[12:15]// 000000005FE0: D3F3000C 1C32997C
	s_add_u32 s32, s4, s32                                     // 000000005FE8: 80202004
	s_addc_u32 s33, 0, s33                                     // 000000005FEC: 82212180
	v_mfma_f32_16x16x32_fp8_fp8 v[12:15], a[126:127], a[78:79], v[12:15]// 000000005FF0: D3F3000C 1C329D7E
	v_fma_f32 v120, v8, v4, v120                               // 000000005FF8: D1CB0078 05E20908
	v_fma_f32 v121, v9, v4, v121                               // 000000006000: D1CB0079 05E60909
	v_fma_f32 v122, v10, v4, v122                              // 000000006008: D1CB007A 05EA090A
	v_fma_f32 v123, v11, v4, v123                              // 000000006010: D1CB007B 05EE090B
	v_fma_f32 v140, v12, v4, v140                              // 000000006018: D1CB008C 0632090C
	v_fma_f32 v141, v13, v4, v141                              // 000000006020: D1CB008D 0636090D
	v_fma_f32 v142, v14, v4, v142                              // 000000006028: D1CB008E 063A090E
	v_fma_f32 v143, v15, v4, v143                              // 000000006030: D1CB008F 063E090F
	s_addk_i32 s80, 0x80                                       // 000000006038: B7500080
	s_cmp_lt_i32 s80, s81                                      // 00000000603C: BF045150
	s_cbranch_scc0 label_0D92                                  // 000000006040: BF840001
	s_branch label_02CF                                        // 000000006044: BF82F53D

0000000000006048 <label_0D92>:
	s_cmp_eq_u32 s88, 0                                        // 000000006048: BF068058
	s_cbranch_scc0 label_1460                                  // 00000000604C: BF8406CC
	s_cmp_eq_u32 s89, 0                                        // 000000006050: BF068059
	s_cbranch_scc1 label_0F2B                                  // 000000006054: BF850195
	v_mov_b32_e32 v8, v1                                       // 000000006058: 7E100301
	v_mov_b32_e32 v9, v1                                       // 00000000605C: 7E120301
	s_mov_b32 s60, s6                                          // 000000006060: BEBC0006
	s_mov_b32 s61, s6                                          // 000000006064: BEBD0006
	v_pk_mul_f32 v[4:5], v[64:65], v[64:65]                    // 000000006068: D3B14004 18028140
	v_pk_mul_f32 v[6:7], v[66:67], v[66:67]                    // 000000006070: D3B14006 18028542
	v_pk_fma_f32 v[4:5], v[4:5], s[78:79], v[8:9]              // 000000006078: D3B04004 1C209D04
	v_pk_fma_f32 v[6:7], v[6:7], s[78:79], v[8:9]              // 000000006080: D3B04006 1C209D06
	v_pk_mul_f32 v[4:5], v[4:5], v[64:65]                      // 000000006088: D3B14004 18028104
	v_pk_mul_f32 v[6:7], v[6:7], v[66:67]                      // 000000006090: D3B14006 18028506
	v_pk_mul_f32 v[4:5], v[4:5], s[60:61]                      // 000000006098: D3B14004 18007904
	v_pk_mul_f32 v[6:7], v[6:7], s[60:61]                      // 0000000060A0: D3B14006 18007906
	v_exp_f32_e32 v4, v4                                       // 0000000060A8: 7E084104
	v_exp_f32_e32 v5, v5                                       // 0000000060AC: 7E0A4105
	v_exp_f32_e32 v6, v6                                       // 0000000060B0: 7E0C4106
	v_exp_f32_e32 v7, v7                                       // 0000000060B4: 7E0E4107
	v_add_f32_e64 v4, v4, 1.0                                  // 0000000060B8: D1010004 0001E504
	v_add_f32_e64 v5, v5, 1.0                                  // 0000000060C0: D1010005 0001E505
	v_add_f32_e64 v6, v6, 1.0                                  // 0000000060C8: D1010006 0001E506
	v_add_f32_e64 v7, v7, 1.0                                  // 0000000060D0: D1010007 0001E507
	v_rcp_f32_e32 v4, v4                                       // 0000000060D8: 7E084504
	v_rcp_f32_e32 v5, v5                                       // 0000000060DC: 7E0A4505
	v_rcp_f32_e32 v6, v6                                       // 0000000060E0: 7E0C4506
	v_rcp_f32_e32 v7, v7                                       // 0000000060E4: 7E0E4507
	v_mul_f32_e32 v64, v64, v4                                 // 0000000060E8: 0A800940
	v_mul_f32_e32 v65, v65, v5                                 // 0000000060EC: 0A820B41
	v_mul_f32_e32 v66, v66, v6                                 // 0000000060F0: 0A840D42
	v_mul_f32_e32 v67, v67, v7                                 // 0000000060F4: 0A860F43
	v_mul_f32_e32 v64, v64, v104                               // 0000000060F8: 0A80D140
	v_mul_f32_e32 v65, v65, v105                               // 0000000060FC: 0A82D341
	v_mul_f32_e32 v66, v66, v106                               // 000000006100: 0A84D542
	v_mul_f32_e32 v67, v67, v107                               // 000000006104: 0A86D743
	v_pk_mul_f32 v[4:5], v[68:69], v[68:69]                    // 000000006108: D3B14004 18028944
	v_pk_mul_f32 v[6:7], v[70:71], v[70:71]                    // 000000006110: D3B14006 18028D46
	v_pk_fma_f32 v[4:5], v[4:5], s[78:79], v[8:9]              // 000000006118: D3B04004 1C209D04
	v_pk_fma_f32 v[6:7], v[6:7], s[78:79], v[8:9]              // 000000006120: D3B04006 1C209D06
	v_pk_mul_f32 v[4:5], v[4:5], v[68:69]                      // 000000006128: D3B14004 18028904
	v_pk_mul_f32 v[6:7], v[6:7], v[70:71]                      // 000000006130: D3B14006 18028D06
	v_pk_mul_f32 v[4:5], v[4:5], s[60:61]                      // 000000006138: D3B14004 18007904
	v_pk_mul_f32 v[6:7], v[6:7], s[60:61]                      // 000000006140: D3B14006 18007906
	v_exp_f32_e32 v4, v4                                       // 000000006148: 7E084104
	v_exp_f32_e32 v5, v5                                       // 00000000614C: 7E0A4105
	v_exp_f32_e32 v6, v6                                       // 000000006150: 7E0C4106
	v_exp_f32_e32 v7, v7                                       // 000000006154: 7E0E4107
	v_add_f32_e64 v4, v4, 1.0                                  // 000000006158: D1010004 0001E504
	v_add_f32_e64 v5, v5, 1.0                                  // 000000006160: D1010005 0001E505
	v_add_f32_e64 v6, v6, 1.0                                  // 000000006168: D1010006 0001E506
	v_add_f32_e64 v7, v7, 1.0                                  // 000000006170: D1010007 0001E507
	v_rcp_f32_e32 v4, v4                                       // 000000006178: 7E084504
	v_rcp_f32_e32 v5, v5                                       // 00000000617C: 7E0A4505
	v_rcp_f32_e32 v6, v6                                       // 000000006180: 7E0C4506
	v_rcp_f32_e32 v7, v7                                       // 000000006184: 7E0E4507
	v_mul_f32_e32 v68, v68, v4                                 // 000000006188: 0A880944
	v_mul_f32_e32 v69, v69, v5                                 // 00000000618C: 0A8A0B45
	v_mul_f32_e32 v70, v70, v6                                 // 000000006190: 0A8C0D46
	v_mul_f32_e32 v71, v71, v7                                 // 000000006194: 0A8E0F47
	v_mul_f32_e32 v68, v68, v108                               // 000000006198: 0A88D944
	v_mul_f32_e32 v69, v69, v109                               // 00000000619C: 0A8ADB45
	v_mul_f32_e32 v70, v70, v110                               // 0000000061A0: 0A8CDD46
	v_mul_f32_e32 v71, v71, v111                               // 0000000061A4: 0A8EDF47
	v_pk_mul_f32 v[4:5], v[72:73], v[72:73]                    // 0000000061A8: D3B14004 18029148
	v_pk_mul_f32 v[6:7], v[74:75], v[74:75]                    // 0000000061B0: D3B14006 1802954A
	v_pk_fma_f32 v[4:5], v[4:5], s[78:79], v[8:9]              // 0000000061B8: D3B04004 1C209D04
	v_pk_fma_f32 v[6:7], v[6:7], s[78:79], v[8:9]              // 0000000061C0: D3B04006 1C209D06
	v_pk_mul_f32 v[4:5], v[4:5], v[72:73]                      // 0000000061C8: D3B14004 18029104
	v_pk_mul_f32 v[6:7], v[6:7], v[74:75]                      // 0000000061D0: D3B14006 18029506
	v_pk_mul_f32 v[4:5], v[4:5], s[60:61]                      // 0000000061D8: D3B14004 18007904
	v_pk_mul_f32 v[6:7], v[6:7], s[60:61]                      // 0000000061E0: D3B14006 18007906
	v_exp_f32_e32 v4, v4                                       // 0000000061E8: 7E084104
	v_exp_f32_e32 v5, v5                                       // 0000000061EC: 7E0A4105
	v_exp_f32_e32 v6, v6                                       // 0000000061F0: 7E0C4106
	v_exp_f32_e32 v7, v7                                       // 0000000061F4: 7E0E4107
	v_add_f32_e64 v4, v4, 1.0                                  // 0000000061F8: D1010004 0001E504
	v_add_f32_e64 v5, v5, 1.0                                  // 000000006200: D1010005 0001E505
	v_add_f32_e64 v6, v6, 1.0                                  // 000000006208: D1010006 0001E506
	v_add_f32_e64 v7, v7, 1.0                                  // 000000006210: D1010007 0001E507
	v_rcp_f32_e32 v4, v4                                       // 000000006218: 7E084504
	v_rcp_f32_e32 v5, v5                                       // 00000000621C: 7E0A4505
	v_rcp_f32_e32 v6, v6                                       // 000000006220: 7E0C4506
	v_rcp_f32_e32 v7, v7                                       // 000000006224: 7E0E4507
	v_mul_f32_e32 v72, v72, v4                                 // 000000006228: 0A900948
	v_mul_f32_e32 v73, v73, v5                                 // 00000000622C: 0A920B49
	v_mul_f32_e32 v74, v74, v6                                 // 000000006230: 0A940D4A
	v_mul_f32_e32 v75, v75, v7                                 // 000000006234: 0A960F4B
	v_mul_f32_e32 v72, v72, v112                               // 000000006238: 0A90E148
	v_mul_f32_e32 v73, v73, v113                               // 00000000623C: 0A92E349
	v_mul_f32_e32 v74, v74, v114                               // 000000006240: 0A94E54A
	v_mul_f32_e32 v75, v75, v115                               // 000000006244: 0A96E74B
	v_pk_mul_f32 v[4:5], v[76:77], v[76:77]                    // 000000006248: D3B14004 1802994C
	v_pk_mul_f32 v[6:7], v[78:79], v[78:79]                    // 000000006250: D3B14006 18029D4E
	v_pk_fma_f32 v[4:5], v[4:5], s[78:79], v[8:9]              // 000000006258: D3B04004 1C209D04
	v_pk_fma_f32 v[6:7], v[6:7], s[78:79], v[8:9]              // 000000006260: D3B04006 1C209D06
	v_pk_mul_f32 v[4:5], v[4:5], v[76:77]                      // 000000006268: D3B14004 18029904
	v_pk_mul_f32 v[6:7], v[6:7], v[78:79]                      // 000000006270: D3B14006 18029D06
	v_pk_mul_f32 v[4:5], v[4:5], s[60:61]                      // 000000006278: D3B14004 18007904
	v_pk_mul_f32 v[6:7], v[6:7], s[60:61]                      // 000000006280: D3B14006 18007906
	v_exp_f32_e32 v4, v4                                       // 000000006288: 7E084104
	v_exp_f32_e32 v5, v5                                       // 00000000628C: 7E0A4105
	v_exp_f32_e32 v6, v6                                       // 000000006290: 7E0C4106
	v_exp_f32_e32 v7, v7                                       // 000000006294: 7E0E4107
	v_add_f32_e64 v4, v4, 1.0                                  // 000000006298: D1010004 0001E504
	v_add_f32_e64 v5, v5, 1.0                                  // 0000000062A0: D1010005 0001E505
	v_add_f32_e64 v6, v6, 1.0                                  // 0000000062A8: D1010006 0001E506
	v_add_f32_e64 v7, v7, 1.0                                  // 0000000062B0: D1010007 0001E507
	v_rcp_f32_e32 v4, v4                                       // 0000000062B8: 7E084504
	v_rcp_f32_e32 v5, v5                                       // 0000000062BC: 7E0A4505
	v_rcp_f32_e32 v6, v6                                       // 0000000062C0: 7E0C4506
	v_rcp_f32_e32 v7, v7                                       // 0000000062C4: 7E0E4507
	v_mul_f32_e32 v76, v76, v4                                 // 0000000062C8: 0A98094C
	v_mul_f32_e32 v77, v77, v5                                 // 0000000062CC: 0A9A0B4D
	v_mul_f32_e32 v78, v78, v6                                 // 0000000062D0: 0A9C0D4E
	v_mul_f32_e32 v79, v79, v7                                 // 0000000062D4: 0A9E0F4F
	v_mul_f32_e32 v76, v76, v116                               // 0000000062D8: 0A98E94C
	v_mul_f32_e32 v77, v77, v117                               // 0000000062DC: 0A9AEB4D
	v_mul_f32_e32 v78, v78, v118                               // 0000000062E0: 0A9CED4E
	v_mul_f32_e32 v79, v79, v119                               // 0000000062E4: 0A9EEF4F
	v_pk_mul_f32 v[4:5], v[80:81], v[80:81]                    // 0000000062E8: D3B14004 1802A150
	v_pk_mul_f32 v[6:7], v[82:83], v[82:83]                    // 0000000062F0: D3B14006 1802A552
	v_pk_fma_f32 v[4:5], v[4:5], s[78:79], v[8:9]              // 0000000062F8: D3B04004 1C209D04
	v_pk_fma_f32 v[6:7], v[6:7], s[78:79], v[8:9]              // 000000006300: D3B04006 1C209D06
	v_pk_mul_f32 v[4:5], v[4:5], v[80:81]                      // 000000006308: D3B14004 1802A104
	v_pk_mul_f32 v[6:7], v[6:7], v[82:83]                      // 000000006310: D3B14006 1802A506
	v_pk_mul_f32 v[4:5], v[4:5], s[60:61]                      // 000000006318: D3B14004 18007904
	v_pk_mul_f32 v[6:7], v[6:7], s[60:61]                      // 000000006320: D3B14006 18007906
	v_exp_f32_e32 v4, v4                                       // 000000006328: 7E084104
	v_exp_f32_e32 v5, v5                                       // 00000000632C: 7E0A4105
	v_exp_f32_e32 v6, v6                                       // 000000006330: 7E0C4106
	v_exp_f32_e32 v7, v7                                       // 000000006334: 7E0E4107
	v_add_f32_e64 v4, v4, 1.0                                  // 000000006338: D1010004 0001E504
	v_add_f32_e64 v5, v5, 1.0                                  // 000000006340: D1010005 0001E505
	v_add_f32_e64 v6, v6, 1.0                                  // 000000006348: D1010006 0001E506
	v_add_f32_e64 v7, v7, 1.0                                  // 000000006350: D1010007 0001E507
	v_rcp_f32_e32 v4, v4                                       // 000000006358: 7E084504
	v_rcp_f32_e32 v5, v5                                       // 00000000635C: 7E0A4505
	v_rcp_f32_e32 v6, v6                                       // 000000006360: 7E0C4506
	v_rcp_f32_e32 v7, v7                                       // 000000006364: 7E0E4507
	v_mul_f32_e32 v80, v80, v4                                 // 000000006368: 0AA00950
	v_mul_f32_e32 v81, v81, v5                                 // 00000000636C: 0AA20B51
	v_mul_f32_e32 v82, v82, v6                                 // 000000006370: 0AA40D52
	v_mul_f32_e32 v83, v83, v7                                 // 000000006374: 0AA60F53
	v_mul_f32_e32 v80, v80, v120                               // 000000006378: 0AA0F150
	v_mul_f32_e32 v81, v81, v121                               // 00000000637C: 0AA2F351
	v_mul_f32_e32 v82, v82, v122                               // 000000006380: 0AA4F552
	v_mul_f32_e32 v83, v83, v123                               // 000000006384: 0AA6F753
	v_pk_mul_f32 v[4:5], v[84:85], v[84:85]                    // 000000006388: D3B14004 1802A954
	v_pk_mul_f32 v[6:7], v[86:87], v[86:87]                    // 000000006390: D3B14006 1802AD56
	v_pk_fma_f32 v[4:5], v[4:5], s[78:79], v[8:9]              // 000000006398: D3B04004 1C209D04
	v_pk_fma_f32 v[6:7], v[6:7], s[78:79], v[8:9]              // 0000000063A0: D3B04006 1C209D06
	v_pk_mul_f32 v[4:5], v[4:5], v[84:85]                      // 0000000063A8: D3B14004 1802A904
	v_pk_mul_f32 v[6:7], v[6:7], v[86:87]                      // 0000000063B0: D3B14006 1802AD06
	v_pk_mul_f32 v[4:5], v[4:5], s[60:61]                      // 0000000063B8: D3B14004 18007904
	v_pk_mul_f32 v[6:7], v[6:7], s[60:61]                      // 0000000063C0: D3B14006 18007906
	v_exp_f32_e32 v4, v4                                       // 0000000063C8: 7E084104
	v_exp_f32_e32 v5, v5                                       // 0000000063CC: 7E0A4105
	v_exp_f32_e32 v6, v6                                       // 0000000063D0: 7E0C4106
	v_exp_f32_e32 v7, v7                                       // 0000000063D4: 7E0E4107
	v_add_f32_e64 v4, v4, 1.0                                  // 0000000063D8: D1010004 0001E504
	v_add_f32_e64 v5, v5, 1.0                                  // 0000000063E0: D1010005 0001E505
	v_add_f32_e64 v6, v6, 1.0                                  // 0000000063E8: D1010006 0001E506
	v_add_f32_e64 v7, v7, 1.0                                  // 0000000063F0: D1010007 0001E507
	v_rcp_f32_e32 v4, v4                                       // 0000000063F8: 7E084504
	v_rcp_f32_e32 v5, v5                                       // 0000000063FC: 7E0A4505
	v_rcp_f32_e32 v6, v6                                       // 000000006400: 7E0C4506
	v_rcp_f32_e32 v7, v7                                       // 000000006404: 7E0E4507
	v_mul_f32_e32 v84, v84, v4                                 // 000000006408: 0AA80954
	v_mul_f32_e32 v85, v85, v5                                 // 00000000640C: 0AAA0B55
	v_mul_f32_e32 v86, v86, v6                                 // 000000006410: 0AAC0D56
	v_mul_f32_e32 v87, v87, v7                                 // 000000006414: 0AAE0F57
	v_mul_f32_e32 v84, v84, v124                               // 000000006418: 0AA8F954
	v_mul_f32_e32 v85, v85, v125                               // 00000000641C: 0AAAFB55
	v_mul_f32_e32 v86, v86, v126                               // 000000006420: 0AACFD56
	v_mul_f32_e32 v87, v87, v127                               // 000000006424: 0AAEFF57
	v_pk_mul_f32 v[4:5], v[88:89], v[88:89]                    // 000000006428: D3B14004 1802B158
	v_pk_mul_f32 v[6:7], v[90:91], v[90:91]                    // 000000006430: D3B14006 1802B55A
	v_pk_fma_f32 v[4:5], v[4:5], s[78:79], v[8:9]              // 000000006438: D3B04004 1C209D04
	v_pk_fma_f32 v[6:7], v[6:7], s[78:79], v[8:9]              // 000000006440: D3B04006 1C209D06
	v_pk_mul_f32 v[4:5], v[4:5], v[88:89]                      // 000000006448: D3B14004 1802B104
	v_pk_mul_f32 v[6:7], v[6:7], v[90:91]                      // 000000006450: D3B14006 1802B506
	v_pk_mul_f32 v[4:5], v[4:5], s[60:61]                      // 000000006458: D3B14004 18007904
	v_pk_mul_f32 v[6:7], v[6:7], s[60:61]                      // 000000006460: D3B14006 18007906
	v_exp_f32_e32 v4, v4                                       // 000000006468: 7E084104
	v_exp_f32_e32 v5, v5                                       // 00000000646C: 7E0A4105
	v_exp_f32_e32 v6, v6                                       // 000000006470: 7E0C4106
	v_exp_f32_e32 v7, v7                                       // 000000006474: 7E0E4107
	v_add_f32_e64 v4, v4, 1.0                                  // 000000006478: D1010004 0001E504
	v_add_f32_e64 v5, v5, 1.0                                  // 000000006480: D1010005 0001E505
	v_add_f32_e64 v6, v6, 1.0                                  // 000000006488: D1010006 0001E506
	v_add_f32_e64 v7, v7, 1.0                                  // 000000006490: D1010007 0001E507
	v_rcp_f32_e32 v4, v4                                       // 000000006498: 7E084504
	v_rcp_f32_e32 v5, v5                                       // 00000000649C: 7E0A4505
	v_rcp_f32_e32 v6, v6                                       // 0000000064A0: 7E0C4506
	v_rcp_f32_e32 v7, v7                                       // 0000000064A4: 7E0E4507
	v_mul_f32_e32 v88, v88, v4                                 // 0000000064A8: 0AB00958
	v_mul_f32_e32 v89, v89, v5                                 // 0000000064AC: 0AB20B59
	v_mul_f32_e32 v90, v90, v6                                 // 0000000064B0: 0AB40D5A
	v_mul_f32_e32 v91, v91, v7                                 // 0000000064B4: 0AB60F5B
	v_mul_f32_e32 v88, v88, v128                               // 0000000064B8: 0AB10158
	v_mul_f32_e32 v89, v89, v129                               // 0000000064BC: 0AB30359
	v_mul_f32_e32 v90, v90, v130                               // 0000000064C0: 0AB5055A
	v_mul_f32_e32 v91, v91, v131                               // 0000000064C4: 0AB7075B
	v_pk_mul_f32 v[4:5], v[92:93], v[92:93]                    // 0000000064C8: D3B14004 1802B95C
	v_pk_mul_f32 v[6:7], v[94:95], v[94:95]                    // 0000000064D0: D3B14006 1802BD5E
	v_pk_fma_f32 v[4:5], v[4:5], s[78:79], v[8:9]              // 0000000064D8: D3B04004 1C209D04
	v_pk_fma_f32 v[6:7], v[6:7], s[78:79], v[8:9]              // 0000000064E0: D3B04006 1C209D06
	v_pk_mul_f32 v[4:5], v[4:5], v[92:93]                      // 0000000064E8: D3B14004 1802B904
	v_pk_mul_f32 v[6:7], v[6:7], v[94:95]                      // 0000000064F0: D3B14006 1802BD06
	v_pk_mul_f32 v[4:5], v[4:5], s[60:61]                      // 0000000064F8: D3B14004 18007904
	v_pk_mul_f32 v[6:7], v[6:7], s[60:61]                      // 000000006500: D3B14006 18007906
	v_exp_f32_e32 v4, v4                                       // 000000006508: 7E084104
	v_exp_f32_e32 v5, v5                                       // 00000000650C: 7E0A4105
	v_exp_f32_e32 v6, v6                                       // 000000006510: 7E0C4106
	v_exp_f32_e32 v7, v7                                       // 000000006514: 7E0E4107
	v_add_f32_e64 v4, v4, 1.0                                  // 000000006518: D1010004 0001E504
	v_add_f32_e64 v5, v5, 1.0                                  // 000000006520: D1010005 0001E505
	v_add_f32_e64 v6, v6, 1.0                                  // 000000006528: D1010006 0001E506
	v_add_f32_e64 v7, v7, 1.0                                  // 000000006530: D1010007 0001E507
	v_rcp_f32_e32 v4, v4                                       // 000000006538: 7E084504
	v_rcp_f32_e32 v5, v5                                       // 00000000653C: 7E0A4505
	v_rcp_f32_e32 v6, v6                                       // 000000006540: 7E0C4506
	v_rcp_f32_e32 v7, v7                                       // 000000006544: 7E0E4507
	v_mul_f32_e32 v92, v92, v4                                 // 000000006548: 0AB8095C
	v_mul_f32_e32 v93, v93, v5                                 // 00000000654C: 0ABA0B5D
	v_mul_f32_e32 v94, v94, v6                                 // 000000006550: 0ABC0D5E
	v_mul_f32_e32 v95, v95, v7                                 // 000000006554: 0ABE0F5F
	v_mul_f32_e32 v92, v92, v132                               // 000000006558: 0AB9095C
	v_mul_f32_e32 v93, v93, v133                               // 00000000655C: 0ABB0B5D
	v_mul_f32_e32 v94, v94, v134                               // 000000006560: 0ABD0D5E
	v_mul_f32_e32 v95, v95, v135                               // 000000006564: 0ABF0F5F
	v_pk_mul_f32 v[4:5], v[96:97], v[96:97]                    // 000000006568: D3B14004 1802C160
	v_pk_mul_f32 v[6:7], v[98:99], v[98:99]                    // 000000006570: D3B14006 1802C562
	v_pk_fma_f32 v[4:5], v[4:5], s[78:79], v[8:9]              // 000000006578: D3B04004 1C209D04
	v_pk_fma_f32 v[6:7], v[6:7], s[78:79], v[8:9]              // 000000006580: D3B04006 1C209D06
	v_pk_mul_f32 v[4:5], v[4:5], v[96:97]                      // 000000006588: D3B14004 1802C104
	v_pk_mul_f32 v[6:7], v[6:7], v[98:99]                      // 000000006590: D3B14006 1802C506
	v_pk_mul_f32 v[4:5], v[4:5], s[60:61]                      // 000000006598: D3B14004 18007904
	v_pk_mul_f32 v[6:7], v[6:7], s[60:61]                      // 0000000065A0: D3B14006 18007906
	v_exp_f32_e32 v4, v4                                       // 0000000065A8: 7E084104
	v_exp_f32_e32 v5, v5                                       // 0000000065AC: 7E0A4105
	v_exp_f32_e32 v6, v6                                       // 0000000065B0: 7E0C4106
	v_exp_f32_e32 v7, v7                                       // 0000000065B4: 7E0E4107
	v_add_f32_e64 v4, v4, 1.0                                  // 0000000065B8: D1010004 0001E504
	v_add_f32_e64 v5, v5, 1.0                                  // 0000000065C0: D1010005 0001E505
	v_add_f32_e64 v6, v6, 1.0                                  // 0000000065C8: D1010006 0001E506
	v_add_f32_e64 v7, v7, 1.0                                  // 0000000065D0: D1010007 0001E507
	v_rcp_f32_e32 v4, v4                                       // 0000000065D8: 7E084504
	v_rcp_f32_e32 v5, v5                                       // 0000000065DC: 7E0A4505
	v_rcp_f32_e32 v6, v6                                       // 0000000065E0: 7E0C4506
	v_rcp_f32_e32 v7, v7                                       // 0000000065E4: 7E0E4507
	v_mul_f32_e32 v96, v96, v4                                 // 0000000065E8: 0AC00960
	v_mul_f32_e32 v97, v97, v5                                 // 0000000065EC: 0AC20B61
	v_mul_f32_e32 v98, v98, v6                                 // 0000000065F0: 0AC40D62
	v_mul_f32_e32 v99, v99, v7                                 // 0000000065F4: 0AC60F63
	v_mul_f32_e32 v96, v96, v136                               // 0000000065F8: 0AC11160
	v_mul_f32_e32 v97, v97, v137                               // 0000000065FC: 0AC31361
	v_mul_f32_e32 v98, v98, v138                               // 000000006600: 0AC51562
	v_mul_f32_e32 v99, v99, v139                               // 000000006604: 0AC71763
	v_pk_mul_f32 v[4:5], v[100:101], v[100:101]                // 000000006608: D3B14004 1802C964
	v_pk_mul_f32 v[6:7], v[102:103], v[102:103]                // 000000006610: D3B14006 1802CD66
	v_pk_fma_f32 v[4:5], v[4:5], s[78:79], v[8:9]              // 000000006618: D3B04004 1C209D04
	v_pk_fma_f32 v[6:7], v[6:7], s[78:79], v[8:9]              // 000000006620: D3B04006 1C209D06
	v_pk_mul_f32 v[4:5], v[4:5], v[100:101]                    // 000000006628: D3B14004 1802C904
	v_pk_mul_f32 v[6:7], v[6:7], v[102:103]                    // 000000006630: D3B14006 1802CD06
	v_pk_mul_f32 v[4:5], v[4:5], s[60:61]                      // 000000006638: D3B14004 18007904
	v_pk_mul_f32 v[6:7], v[6:7], s[60:61]                      // 000000006640: D3B14006 18007906
	v_exp_f32_e32 v4, v4                                       // 000000006648: 7E084104
	v_exp_f32_e32 v5, v5                                       // 00000000664C: 7E0A4105
	v_exp_f32_e32 v6, v6                                       // 000000006650: 7E0C4106
	v_exp_f32_e32 v7, v7                                       // 000000006654: 7E0E4107
	v_add_f32_e64 v4, v4, 1.0                                  // 000000006658: D1010004 0001E504
	v_add_f32_e64 v5, v5, 1.0                                  // 000000006660: D1010005 0001E505
	v_add_f32_e64 v6, v6, 1.0                                  // 000000006668: D1010006 0001E506
	v_add_f32_e64 v7, v7, 1.0                                  // 000000006670: D1010007 0001E507
	v_rcp_f32_e32 v4, v4                                       // 000000006678: 7E084504
	v_rcp_f32_e32 v5, v5                                       // 00000000667C: 7E0A4505
	v_rcp_f32_e32 v6, v6                                       // 000000006680: 7E0C4506
	v_rcp_f32_e32 v7, v7                                       // 000000006684: 7E0E4507
	v_mul_f32_e32 v100, v100, v4                               // 000000006688: 0AC80964
	v_mul_f32_e32 v101, v101, v5                               // 00000000668C: 0ACA0B65
	v_mul_f32_e32 v102, v102, v6                               // 000000006690: 0ACC0D66
	v_mul_f32_e32 v103, v103, v7                               // 000000006694: 0ACE0F67
	v_mul_f32_e32 v100, v100, v140                             // 000000006698: 0AC91964
	v_mul_f32_e32 v101, v101, v141                             // 00000000669C: 0ACB1B65
	v_mul_f32_e32 v102, v102, v142                             // 0000000066A0: 0ACD1D66
	v_mul_f32_e32 v103, v103, v143                             // 0000000066A4: 0ACF1F67
	s_branch label_106B                                        // 0000000066A8: BF820140

00000000000066ac <label_0F2B>:
	v_mul_f32_e64 v4, -v64, s6                                 // 0000000066AC: D1050004 20000D40
	v_mul_f32_e64 v5, -v65, s6                                 // 0000000066B4: D1050005 20000D41
	v_mul_f32_e64 v6, -v66, s6                                 // 0000000066BC: D1050006 20000D42
	v_mul_f32_e64 v7, -v67, s6                                 // 0000000066C4: D1050007 20000D43
	v_exp_f32_e32 v4, v4                                       // 0000000066CC: 7E084104
	v_exp_f32_e32 v5, v5                                       // 0000000066D0: 7E0A4105
	v_exp_f32_e32 v6, v6                                       // 0000000066D4: 7E0C4106
	v_exp_f32_e32 v7, v7                                       // 0000000066D8: 7E0E4107
	v_add_f32_e64 v4, v4, 1.0                                  // 0000000066DC: D1010004 0001E504
	v_add_f32_e64 v5, v5, 1.0                                  // 0000000066E4: D1010005 0001E505
	v_add_f32_e64 v6, v6, 1.0                                  // 0000000066EC: D1010006 0001E506
	v_add_f32_e64 v7, v7, 1.0                                  // 0000000066F4: D1010007 0001E507
	v_rcp_f32_e32 v4, v4                                       // 0000000066FC: 7E084504
	v_rcp_f32_e32 v5, v5                                       // 000000006700: 7E0A4505
	v_rcp_f32_e32 v6, v6                                       // 000000006704: 7E0C4506
	v_rcp_f32_e32 v7, v7                                       // 000000006708: 7E0E4507
	v_mul_f32_e32 v64, v64, v4                                 // 00000000670C: 0A800940
	v_mul_f32_e32 v65, v65, v5                                 // 000000006710: 0A820B41
	v_mul_f32_e32 v66, v66, v6                                 // 000000006714: 0A840D42
	v_mul_f32_e32 v67, v67, v7                                 // 000000006718: 0A860F43
	v_mul_f32_e32 v64, v64, v104                               // 00000000671C: 0A80D140
	v_mul_f32_e32 v65, v65, v105                               // 000000006720: 0A82D341
	v_mul_f32_e32 v66, v66, v106                               // 000000006724: 0A84D542
	v_mul_f32_e32 v67, v67, v107                               // 000000006728: 0A86D743
	v_mul_f32_e64 v4, -v68, s6                                 // 00000000672C: D1050004 20000D44
	v_mul_f32_e64 v5, -v69, s6                                 // 000000006734: D1050005 20000D45
	v_mul_f32_e64 v6, -v70, s6                                 // 00000000673C: D1050006 20000D46
	v_mul_f32_e64 v7, -v71, s6                                 // 000000006744: D1050007 20000D47
	v_exp_f32_e32 v4, v4                                       // 00000000674C: 7E084104
	v_exp_f32_e32 v5, v5                                       // 000000006750: 7E0A4105
	v_exp_f32_e32 v6, v6                                       // 000000006754: 7E0C4106
	v_exp_f32_e32 v7, v7                                       // 000000006758: 7E0E4107
	v_add_f32_e64 v4, v4, 1.0                                  // 00000000675C: D1010004 0001E504
	v_add_f32_e64 v5, v5, 1.0                                  // 000000006764: D1010005 0001E505
	v_add_f32_e64 v6, v6, 1.0                                  // 00000000676C: D1010006 0001E506
	v_add_f32_e64 v7, v7, 1.0                                  // 000000006774: D1010007 0001E507
	v_rcp_f32_e32 v4, v4                                       // 00000000677C: 7E084504
	v_rcp_f32_e32 v5, v5                                       // 000000006780: 7E0A4505
	v_rcp_f32_e32 v6, v6                                       // 000000006784: 7E0C4506
	v_rcp_f32_e32 v7, v7                                       // 000000006788: 7E0E4507
	v_mul_f32_e32 v68, v68, v4                                 // 00000000678C: 0A880944
	v_mul_f32_e32 v69, v69, v5                                 // 000000006790: 0A8A0B45
	v_mul_f32_e32 v70, v70, v6                                 // 000000006794: 0A8C0D46
	v_mul_f32_e32 v71, v71, v7                                 // 000000006798: 0A8E0F47
	v_mul_f32_e32 v68, v68, v108                               // 00000000679C: 0A88D944
	v_mul_f32_e32 v69, v69, v109                               // 0000000067A0: 0A8ADB45
	v_mul_f32_e32 v70, v70, v110                               // 0000000067A4: 0A8CDD46
	v_mul_f32_e32 v71, v71, v111                               // 0000000067A8: 0A8EDF47
	v_mul_f32_e64 v4, -v72, s6                                 // 0000000067AC: D1050004 20000D48
	v_mul_f32_e64 v5, -v73, s6                                 // 0000000067B4: D1050005 20000D49
	v_mul_f32_e64 v6, -v74, s6                                 // 0000000067BC: D1050006 20000D4A
	v_mul_f32_e64 v7, -v75, s6                                 // 0000000067C4: D1050007 20000D4B
	v_exp_f32_e32 v4, v4                                       // 0000000067CC: 7E084104
	v_exp_f32_e32 v5, v5                                       // 0000000067D0: 7E0A4105
	v_exp_f32_e32 v6, v6                                       // 0000000067D4: 7E0C4106
	v_exp_f32_e32 v7, v7                                       // 0000000067D8: 7E0E4107
	v_add_f32_e64 v4, v4, 1.0                                  // 0000000067DC: D1010004 0001E504
	v_add_f32_e64 v5, v5, 1.0                                  // 0000000067E4: D1010005 0001E505
	v_add_f32_e64 v6, v6, 1.0                                  // 0000000067EC: D1010006 0001E506
	v_add_f32_e64 v7, v7, 1.0                                  // 0000000067F4: D1010007 0001E507
	v_rcp_f32_e32 v4, v4                                       // 0000000067FC: 7E084504
	v_rcp_f32_e32 v5, v5                                       // 000000006800: 7E0A4505
	v_rcp_f32_e32 v6, v6                                       // 000000006804: 7E0C4506
	v_rcp_f32_e32 v7, v7                                       // 000000006808: 7E0E4507
	v_mul_f32_e32 v72, v72, v4                                 // 00000000680C: 0A900948
	v_mul_f32_e32 v73, v73, v5                                 // 000000006810: 0A920B49
	v_mul_f32_e32 v74, v74, v6                                 // 000000006814: 0A940D4A
	v_mul_f32_e32 v75, v75, v7                                 // 000000006818: 0A960F4B
	v_mul_f32_e32 v72, v72, v112                               // 00000000681C: 0A90E148
	v_mul_f32_e32 v73, v73, v113                               // 000000006820: 0A92E349
	v_mul_f32_e32 v74, v74, v114                               // 000000006824: 0A94E54A
	v_mul_f32_e32 v75, v75, v115                               // 000000006828: 0A96E74B
	v_mul_f32_e64 v4, -v76, s6                                 // 00000000682C: D1050004 20000D4C
	v_mul_f32_e64 v5, -v77, s6                                 // 000000006834: D1050005 20000D4D
	v_mul_f32_e64 v6, -v78, s6                                 // 00000000683C: D1050006 20000D4E
	v_mul_f32_e64 v7, -v79, s6                                 // 000000006844: D1050007 20000D4F
	v_exp_f32_e32 v4, v4                                       // 00000000684C: 7E084104
	v_exp_f32_e32 v5, v5                                       // 000000006850: 7E0A4105
	v_exp_f32_e32 v6, v6                                       // 000000006854: 7E0C4106
	v_exp_f32_e32 v7, v7                                       // 000000006858: 7E0E4107
	v_add_f32_e64 v4, v4, 1.0                                  // 00000000685C: D1010004 0001E504
	v_add_f32_e64 v5, v5, 1.0                                  // 000000006864: D1010005 0001E505
	v_add_f32_e64 v6, v6, 1.0                                  // 00000000686C: D1010006 0001E506
	v_add_f32_e64 v7, v7, 1.0                                  // 000000006874: D1010007 0001E507
	v_rcp_f32_e32 v4, v4                                       // 00000000687C: 7E084504
	v_rcp_f32_e32 v5, v5                                       // 000000006880: 7E0A4505
	v_rcp_f32_e32 v6, v6                                       // 000000006884: 7E0C4506
	v_rcp_f32_e32 v7, v7                                       // 000000006888: 7E0E4507
	v_mul_f32_e32 v76, v76, v4                                 // 00000000688C: 0A98094C
	v_mul_f32_e32 v77, v77, v5                                 // 000000006890: 0A9A0B4D
	v_mul_f32_e32 v78, v78, v6                                 // 000000006894: 0A9C0D4E
	v_mul_f32_e32 v79, v79, v7                                 // 000000006898: 0A9E0F4F
	v_mul_f32_e32 v76, v76, v116                               // 00000000689C: 0A98E94C
	v_mul_f32_e32 v77, v77, v117                               // 0000000068A0: 0A9AEB4D
	v_mul_f32_e32 v78, v78, v118                               // 0000000068A4: 0A9CED4E
	v_mul_f32_e32 v79, v79, v119                               // 0000000068A8: 0A9EEF4F
	v_mul_f32_e64 v4, -v80, s6                                 // 0000000068AC: D1050004 20000D50
	v_mul_f32_e64 v5, -v81, s6                                 // 0000000068B4: D1050005 20000D51
	v_mul_f32_e64 v6, -v82, s6                                 // 0000000068BC: D1050006 20000D52
	v_mul_f32_e64 v7, -v83, s6                                 // 0000000068C4: D1050007 20000D53
	v_exp_f32_e32 v4, v4                                       // 0000000068CC: 7E084104
	v_exp_f32_e32 v5, v5                                       // 0000000068D0: 7E0A4105
	v_exp_f32_e32 v6, v6                                       // 0000000068D4: 7E0C4106
	v_exp_f32_e32 v7, v7                                       // 0000000068D8: 7E0E4107
	v_add_f32_e64 v4, v4, 1.0                                  // 0000000068DC: D1010004 0001E504
	v_add_f32_e64 v5, v5, 1.0                                  // 0000000068E4: D1010005 0001E505
	v_add_f32_e64 v6, v6, 1.0                                  // 0000000068EC: D1010006 0001E506
	v_add_f32_e64 v7, v7, 1.0                                  // 0000000068F4: D1010007 0001E507
	v_rcp_f32_e32 v4, v4                                       // 0000000068FC: 7E084504
	v_rcp_f32_e32 v5, v5                                       // 000000006900: 7E0A4505
	v_rcp_f32_e32 v6, v6                                       // 000000006904: 7E0C4506
	v_rcp_f32_e32 v7, v7                                       // 000000006908: 7E0E4507
	v_mul_f32_e32 v80, v80, v4                                 // 00000000690C: 0AA00950
	v_mul_f32_e32 v81, v81, v5                                 // 000000006910: 0AA20B51
	v_mul_f32_e32 v82, v82, v6                                 // 000000006914: 0AA40D52
	v_mul_f32_e32 v83, v83, v7                                 // 000000006918: 0AA60F53
	v_mul_f32_e32 v80, v80, v120                               // 00000000691C: 0AA0F150
	v_mul_f32_e32 v81, v81, v121                               // 000000006920: 0AA2F351
	v_mul_f32_e32 v82, v82, v122                               // 000000006924: 0AA4F552
	v_mul_f32_e32 v83, v83, v123                               // 000000006928: 0AA6F753
	v_mul_f32_e64 v4, -v84, s6                                 // 00000000692C: D1050004 20000D54
	v_mul_f32_e64 v5, -v85, s6                                 // 000000006934: D1050005 20000D55
	v_mul_f32_e64 v6, -v86, s6                                 // 00000000693C: D1050006 20000D56
	v_mul_f32_e64 v7, -v87, s6                                 // 000000006944: D1050007 20000D57
	v_exp_f32_e32 v4, v4                                       // 00000000694C: 7E084104
	v_exp_f32_e32 v5, v5                                       // 000000006950: 7E0A4105
	v_exp_f32_e32 v6, v6                                       // 000000006954: 7E0C4106
	v_exp_f32_e32 v7, v7                                       // 000000006958: 7E0E4107
	v_add_f32_e64 v4, v4, 1.0                                  // 00000000695C: D1010004 0001E504
	v_add_f32_e64 v5, v5, 1.0                                  // 000000006964: D1010005 0001E505
	v_add_f32_e64 v6, v6, 1.0                                  // 00000000696C: D1010006 0001E506
	v_add_f32_e64 v7, v7, 1.0                                  // 000000006974: D1010007 0001E507
	v_rcp_f32_e32 v4, v4                                       // 00000000697C: 7E084504
	v_rcp_f32_e32 v5, v5                                       // 000000006980: 7E0A4505
	v_rcp_f32_e32 v6, v6                                       // 000000006984: 7E0C4506
	v_rcp_f32_e32 v7, v7                                       // 000000006988: 7E0E4507
	v_mul_f32_e32 v84, v84, v4                                 // 00000000698C: 0AA80954
	v_mul_f32_e32 v85, v85, v5                                 // 000000006990: 0AAA0B55
	v_mul_f32_e32 v86, v86, v6                                 // 000000006994: 0AAC0D56
	v_mul_f32_e32 v87, v87, v7                                 // 000000006998: 0AAE0F57
	v_mul_f32_e32 v84, v84, v124                               // 00000000699C: 0AA8F954
	v_mul_f32_e32 v85, v85, v125                               // 0000000069A0: 0AAAFB55
	v_mul_f32_e32 v86, v86, v126                               // 0000000069A4: 0AACFD56
	v_mul_f32_e32 v87, v87, v127                               // 0000000069A8: 0AAEFF57
	v_mul_f32_e64 v4, -v88, s6                                 // 0000000069AC: D1050004 20000D58
	v_mul_f32_e64 v5, -v89, s6                                 // 0000000069B4: D1050005 20000D59
	v_mul_f32_e64 v6, -v90, s6                                 // 0000000069BC: D1050006 20000D5A
	v_mul_f32_e64 v7, -v91, s6                                 // 0000000069C4: D1050007 20000D5B
	v_exp_f32_e32 v4, v4                                       // 0000000069CC: 7E084104
	v_exp_f32_e32 v5, v5                                       // 0000000069D0: 7E0A4105
	v_exp_f32_e32 v6, v6                                       // 0000000069D4: 7E0C4106
	v_exp_f32_e32 v7, v7                                       // 0000000069D8: 7E0E4107
	v_add_f32_e64 v4, v4, 1.0                                  // 0000000069DC: D1010004 0001E504
	v_add_f32_e64 v5, v5, 1.0                                  // 0000000069E4: D1010005 0001E505
	v_add_f32_e64 v6, v6, 1.0                                  // 0000000069EC: D1010006 0001E506
	v_add_f32_e64 v7, v7, 1.0                                  // 0000000069F4: D1010007 0001E507
	v_rcp_f32_e32 v4, v4                                       // 0000000069FC: 7E084504
	v_rcp_f32_e32 v5, v5                                       // 000000006A00: 7E0A4505
	v_rcp_f32_e32 v6, v6                                       // 000000006A04: 7E0C4506
	v_rcp_f32_e32 v7, v7                                       // 000000006A08: 7E0E4507
	v_mul_f32_e32 v88, v88, v4                                 // 000000006A0C: 0AB00958
	v_mul_f32_e32 v89, v89, v5                                 // 000000006A10: 0AB20B59
	v_mul_f32_e32 v90, v90, v6                                 // 000000006A14: 0AB40D5A
	v_mul_f32_e32 v91, v91, v7                                 // 000000006A18: 0AB60F5B
	v_mul_f32_e32 v88, v88, v128                               // 000000006A1C: 0AB10158
	v_mul_f32_e32 v89, v89, v129                               // 000000006A20: 0AB30359
	v_mul_f32_e32 v90, v90, v130                               // 000000006A24: 0AB5055A
	v_mul_f32_e32 v91, v91, v131                               // 000000006A28: 0AB7075B
	v_mul_f32_e64 v4, -v92, s6                                 // 000000006A2C: D1050004 20000D5C
	v_mul_f32_e64 v5, -v93, s6                                 // 000000006A34: D1050005 20000D5D
	v_mul_f32_e64 v6, -v94, s6                                 // 000000006A3C: D1050006 20000D5E
	v_mul_f32_e64 v7, -v95, s6                                 // 000000006A44: D1050007 20000D5F
	v_exp_f32_e32 v4, v4                                       // 000000006A4C: 7E084104
	v_exp_f32_e32 v5, v5                                       // 000000006A50: 7E0A4105
	v_exp_f32_e32 v6, v6                                       // 000000006A54: 7E0C4106
	v_exp_f32_e32 v7, v7                                       // 000000006A58: 7E0E4107
	v_add_f32_e64 v4, v4, 1.0                                  // 000000006A5C: D1010004 0001E504
	v_add_f32_e64 v5, v5, 1.0                                  // 000000006A64: D1010005 0001E505
	v_add_f32_e64 v6, v6, 1.0                                  // 000000006A6C: D1010006 0001E506
	v_add_f32_e64 v7, v7, 1.0                                  // 000000006A74: D1010007 0001E507
	v_rcp_f32_e32 v4, v4                                       // 000000006A7C: 7E084504
	v_rcp_f32_e32 v5, v5                                       // 000000006A80: 7E0A4505
	v_rcp_f32_e32 v6, v6                                       // 000000006A84: 7E0C4506
	v_rcp_f32_e32 v7, v7                                       // 000000006A88: 7E0E4507
	v_mul_f32_e32 v92, v92, v4                                 // 000000006A8C: 0AB8095C
	v_mul_f32_e32 v93, v93, v5                                 // 000000006A90: 0ABA0B5D
	v_mul_f32_e32 v94, v94, v6                                 // 000000006A94: 0ABC0D5E
	v_mul_f32_e32 v95, v95, v7                                 // 000000006A98: 0ABE0F5F
	v_mul_f32_e32 v92, v92, v132                               // 000000006A9C: 0AB9095C
	v_mul_f32_e32 v93, v93, v133                               // 000000006AA0: 0ABB0B5D
	v_mul_f32_e32 v94, v94, v134                               // 000000006AA4: 0ABD0D5E
	v_mul_f32_e32 v95, v95, v135                               // 000000006AA8: 0ABF0F5F
	v_mul_f32_e64 v4, -v96, s6                                 // 000000006AAC: D1050004 20000D60
	v_mul_f32_e64 v5, -v97, s6                                 // 000000006AB4: D1050005 20000D61
	v_mul_f32_e64 v6, -v98, s6                                 // 000000006ABC: D1050006 20000D62
	v_mul_f32_e64 v7, -v99, s6                                 // 000000006AC4: D1050007 20000D63
	v_exp_f32_e32 v4, v4                                       // 000000006ACC: 7E084104
	v_exp_f32_e32 v5, v5                                       // 000000006AD0: 7E0A4105
	v_exp_f32_e32 v6, v6                                       // 000000006AD4: 7E0C4106
	v_exp_f32_e32 v7, v7                                       // 000000006AD8: 7E0E4107
	v_add_f32_e64 v4, v4, 1.0                                  // 000000006ADC: D1010004 0001E504
	v_add_f32_e64 v5, v5, 1.0                                  // 000000006AE4: D1010005 0001E505
	v_add_f32_e64 v6, v6, 1.0                                  // 000000006AEC: D1010006 0001E506
	v_add_f32_e64 v7, v7, 1.0                                  // 000000006AF4: D1010007 0001E507
	v_rcp_f32_e32 v4, v4                                       // 000000006AFC: 7E084504
	v_rcp_f32_e32 v5, v5                                       // 000000006B00: 7E0A4505
	v_rcp_f32_e32 v6, v6                                       // 000000006B04: 7E0C4506
	v_rcp_f32_e32 v7, v7                                       // 000000006B08: 7E0E4507
	v_mul_f32_e32 v96, v96, v4                                 // 000000006B0C: 0AC00960
	v_mul_f32_e32 v97, v97, v5                                 // 000000006B10: 0AC20B61
	v_mul_f32_e32 v98, v98, v6                                 // 000000006B14: 0AC40D62
	v_mul_f32_e32 v99, v99, v7                                 // 000000006B18: 0AC60F63
	v_mul_f32_e32 v96, v96, v136                               // 000000006B1C: 0AC11160
	v_mul_f32_e32 v97, v97, v137                               // 000000006B20: 0AC31361
	v_mul_f32_e32 v98, v98, v138                               // 000000006B24: 0AC51562
	v_mul_f32_e32 v99, v99, v139                               // 000000006B28: 0AC71763
	v_mul_f32_e64 v4, -v100, s6                                // 000000006B2C: D1050004 20000D64
	v_mul_f32_e64 v5, -v101, s6                                // 000000006B34: D1050005 20000D65
	v_mul_f32_e64 v6, -v102, s6                                // 000000006B3C: D1050006 20000D66
	v_mul_f32_e64 v7, -v103, s6                                // 000000006B44: D1050007 20000D67
	v_exp_f32_e32 v4, v4                                       // 000000006B4C: 7E084104
	v_exp_f32_e32 v5, v5                                       // 000000006B50: 7E0A4105
	v_exp_f32_e32 v6, v6                                       // 000000006B54: 7E0C4106
	v_exp_f32_e32 v7, v7                                       // 000000006B58: 7E0E4107
	v_add_f32_e64 v4, v4, 1.0                                  // 000000006B5C: D1010004 0001E504
	v_add_f32_e64 v5, v5, 1.0                                  // 000000006B64: D1010005 0001E505
	v_add_f32_e64 v6, v6, 1.0                                  // 000000006B6C: D1010006 0001E506
	v_add_f32_e64 v7, v7, 1.0                                  // 000000006B74: D1010007 0001E507
	v_rcp_f32_e32 v4, v4                                       // 000000006B7C: 7E084504
	v_rcp_f32_e32 v5, v5                                       // 000000006B80: 7E0A4505
	v_rcp_f32_e32 v6, v6                                       // 000000006B84: 7E0C4506
	v_rcp_f32_e32 v7, v7                                       // 000000006B88: 7E0E4507
	v_mul_f32_e32 v100, v100, v4                               // 000000006B8C: 0AC80964
	v_mul_f32_e32 v101, v101, v5                               // 000000006B90: 0ACA0B65
	v_mul_f32_e32 v102, v102, v6                               // 000000006B94: 0ACC0D66
	v_mul_f32_e32 v103, v103, v7                               // 000000006B98: 0ACE0F67
	v_mul_f32_e32 v100, v100, v140                             // 000000006B9C: 0AC91964
	v_mul_f32_e32 v101, v101, v141                             // 000000006BA0: 0ACB1B65
	v_mul_f32_e32 v102, v102, v142                             // 000000006BA4: 0ACD1D66
	v_mul_f32_e32 v103, v103, v143                             // 000000006BA8: 0ACF1F67

0000000000006bac <label_106B>:
	s_cmp_eq_u32 s7, 0                                         // 000000006BAC: BF068007
	s_cbranch_scc0 label_107E                                  // 000000006BB0: BF840011
	v_and_b32_e32 v4, 15, v0                                   // 000000006BB4: 2608008F
	v_lshlrev_b32_e32 v4, 2, v4                                // 000000006BB8: 24080882
	buffer_load_dword v30, v4, s[12:15], 0 offen               // 000000006BBC: E0501000 80031E04
	v_add_u32_e32 v4, 64, v4                                   // 000000006BC4: 680808C0
	buffer_load_dword v31, v4, s[12:15], 0 offen               // 000000006BC8: E0501000 80031F04
	v_add_u32_e32 v4, 64, v4                                   // 000000006BD0: 680808C0
	buffer_load_dword v32, v4, s[12:15], 0 offen               // 000000006BD4: E0501000 80032004
	v_add_u32_e32 v4, 64, v4                                   // 000000006BDC: 680808C0
	buffer_load_dword v33, v4, s[12:15], 0 offen               // 000000006BE0: E0501000 80032104
	v_add_u32_e32 v4, 64, v4                                   // 000000006BE8: 680808C0
	buffer_load_dword v34, v4, s[12:15], 0 offen               // 000000006BEC: E0501000 80032204
	v_add_u32_e32 v4, 64, v4                                   // 000000006BF4: 680808C0

0000000000006bf8 <label_107E>:
	v_lshlrev_b32_e32 v4, 2, v0                                // 000000006BF8: 24080082
	s_mul_i32 s60, 0x100, s7                                   // 000000006BFC: 923C07FF 00000100
	v_add_u32_e32 v109, s60, v4                                // 000000006C04: 68DA083C
	v_and_b32_e32 v4, 15, v0                                   // 000000006C08: 2608008F
	v_lshlrev_b32_e32 v110, 2, v4                              // 000000006C0C: 24DC0882
	s_waitcnt lgkmcnt(0)                                       // 000000006C10: BF8CC07F
	s_barrier                                                  // 000000006C14: BF8A0000
	v_mov_b32_e32 v104, 0x358637bd                             // 000000006C18: 7ED002FF 358637BD
	v_max3_f32 v104, |v64|, |v65|, v104                        // 000000006C20: D1D30368 05A28340
	v_max3_f32 v104, |v66|, |v67|, v104                        // 000000006C28: D1D30368 05A28742
	v_max3_f32 v104, |v84|, |v85|, v104                        // 000000006C30: D1D30368 05A2AB54
	v_max3_f32 v104, |v86|, |v87|, v104                        // 000000006C38: D1D30368 05A2AF56
	ds_write_b32 v109, v104                                    // 000000006C40: D81A0000 0000686D
	s_waitcnt lgkmcnt(0)                                       // 000000006C48: BF8CC07F
	s_barrier                                                  // 000000006C4C: BF8A0000
	ds_read_b32 v4, v110                                       // 000000006C50: D86C0000 0400006E
	ds_read_b32 v5, v110 offset:64                             // 000000006C58: D86C0040 0500006E
	ds_read_b32 v6, v110 offset:128                            // 000000006C60: D86C0080 0600006E
	ds_read_b32 v7, v110 offset:192                            // 000000006C68: D86C00C0 0700006E
	ds_read_b32 v8, v110 offset:256                            // 000000006C70: D86C0100 0800006E
	ds_read_b32 v9, v110 offset:320                            // 000000006C78: D86C0140 0900006E
	ds_read_b32 v10, v110 offset:384                           // 000000006C80: D86C0180 0A00006E
	ds_read_b32 v11, v110 offset:448                           // 000000006C88: D86C01C0 0B00006E
	ds_read_b32 v12, v110 offset:512                           // 000000006C90: D86C0200 0C00006E
	ds_read_b32 v13, v110 offset:576                           // 000000006C98: D86C0240 0D00006E
	ds_read_b32 v14, v110 offset:640                           // 000000006CA0: D86C0280 0E00006E
	ds_read_b32 v15, v110 offset:704                           // 000000006CA8: D86C02C0 0F00006E
	ds_read_b32 v16, v110 offset:768                           // 000000006CB0: D86C0300 1000006E
	ds_read_b32 v17, v110 offset:832                           // 000000006CB8: D86C0340 1100006E
	ds_read_b32 v18, v110 offset:896                           // 000000006CC0: D86C0380 1200006E
	ds_read_b32 v19, v110 offset:960                           // 000000006CC8: D86C03C0 1300006E
	s_waitcnt lgkmcnt(0)                                       // 000000006CD0: BF8CC07F
	s_barrier                                                  // 000000006CD4: BF8A0000
	v_max3_f32 v104, |v4|, |v5|, v104                          // 000000006CD8: D1D30368 05A20B04
	v_max3_f32 v104, |v6|, |v7|, v104                          // 000000006CE0: D1D30368 05A20F06
	v_max3_f32 v104, |v8|, |v9|, v104                          // 000000006CE8: D1D30368 05A21308
	v_max3_f32 v104, |v10|, |v11|, v104                        // 000000006CF0: D1D30368 05A2170A
	v_max3_f32 v104, |v12|, |v13|, v104                        // 000000006CF8: D1D30368 05A21B0C
	v_max3_f32 v104, |v14|, |v15|, v104                        // 000000006D00: D1D30368 05A21F0E
	v_max3_f32 v104, |v16|, |v17|, v104                        // 000000006D08: D1D30368 05A22310
	v_max3_f32 v104, |v18|, |v19|, v104                        // 000000006D10: D1D30368 05A22712
	v_rcp_f32_e32 v104, v104                                   // 000000006D18: 7ED04568
	v_mov_b32_e32 v4, 0x43700000                               // 000000006D1C: 7E0802FF 43700000
	v_mul_f32_e32 v104, v4, v104                               // 000000006D24: 0AD0D104
	v_mov_b32_e32 v4, v104                                     // 000000006D28: 7E080368
	v_mov_b32_e32 v5, v4                                       // 000000006D2C: 7E0A0304
	v_pk_mul_f32 v[64:65], v[4:5], v[64:65]                    // 000000006D30: D3B14040 18028104
	v_pk_mul_f32 v[66:67], v[4:5], v[66:67]                    // 000000006D38: D3B14042 18028504
	v_cvt_pk_fp8_f32 v64, v64, v65                             // 000000006D40: D2A20040 00028340
	v_cvt_pk_fp8_f32 v64, v66, v67 op_sel:[0,0,1]              // 000000006D48: D2A24040 00028742
	v_pk_mul_f32 v[84:85], v[4:5], v[84:85]                    // 000000006D50: D3B14054 1802A904
	v_pk_mul_f32 v[86:87], v[4:5], v[86:87]                    // 000000006D58: D3B14056 1802AD04
	v_cvt_pk_fp8_f32 v84, v84, v85                             // 000000006D60: D2A20054 0002AB54
	v_cvt_pk_fp8_f32 v84, v86, v87 op_sel:[0,0,1]              // 000000006D68: D2A24054 0002AF56
	v_rcp_f32_e32 v104, v104                                   // 000000006D70: 7ED04568
	v_mov_b32_e32 v105, 0x358637bd                             // 000000006D74: 7ED202FF 358637BD
	v_max3_f32 v105, |v68|, |v69|, v105                        // 000000006D7C: D1D30369 05A68B44
	v_max3_f32 v105, |v70|, |v71|, v105                        // 000000006D84: D1D30369 05A68F46
	v_max3_f32 v105, |v88|, |v89|, v105                        // 000000006D8C: D1D30369 05A6B358
	v_max3_f32 v105, |v90|, |v91|, v105                        // 000000006D94: D1D30369 05A6B75A
	ds_write_b32 v109, v105                                    // 000000006D9C: D81A0000 0000696D
	s_waitcnt lgkmcnt(0)                                       // 000000006DA4: BF8CC07F
	s_barrier                                                  // 000000006DA8: BF8A0000
	ds_read_b32 v4, v110                                       // 000000006DAC: D86C0000 0400006E
	ds_read_b32 v5, v110 offset:64                             // 000000006DB4: D86C0040 0500006E
	ds_read_b32 v6, v110 offset:128                            // 000000006DBC: D86C0080 0600006E
	ds_read_b32 v7, v110 offset:192                            // 000000006DC4: D86C00C0 0700006E
	ds_read_b32 v8, v110 offset:256                            // 000000006DCC: D86C0100 0800006E
	ds_read_b32 v9, v110 offset:320                            // 000000006DD4: D86C0140 0900006E
	ds_read_b32 v10, v110 offset:384                           // 000000006DDC: D86C0180 0A00006E
	ds_read_b32 v11, v110 offset:448                           // 000000006DE4: D86C01C0 0B00006E
	ds_read_b32 v12, v110 offset:512                           // 000000006DEC: D86C0200 0C00006E
	ds_read_b32 v13, v110 offset:576                           // 000000006DF4: D86C0240 0D00006E
	ds_read_b32 v14, v110 offset:640                           // 000000006DFC: D86C0280 0E00006E
	ds_read_b32 v15, v110 offset:704                           // 000000006E04: D86C02C0 0F00006E
	ds_read_b32 v16, v110 offset:768                           // 000000006E0C: D86C0300 1000006E
	ds_read_b32 v17, v110 offset:832                           // 000000006E14: D86C0340 1100006E
	ds_read_b32 v18, v110 offset:896                           // 000000006E1C: D86C0380 1200006E
	ds_read_b32 v19, v110 offset:960                           // 000000006E24: D86C03C0 1300006E
	s_waitcnt lgkmcnt(0)                                       // 000000006E2C: BF8CC07F
	s_barrier                                                  // 000000006E30: BF8A0000
	v_max3_f32 v105, |v4|, |v5|, v105                          // 000000006E34: D1D30369 05A60B04
	v_max3_f32 v105, |v6|, |v7|, v105                          // 000000006E3C: D1D30369 05A60F06
	v_max3_f32 v105, |v8|, |v9|, v105                          // 000000006E44: D1D30369 05A61308
	v_max3_f32 v105, |v10|, |v11|, v105                        // 000000006E4C: D1D30369 05A6170A
	v_max3_f32 v105, |v12|, |v13|, v105                        // 000000006E54: D1D30369 05A61B0C
	v_max3_f32 v105, |v14|, |v15|, v105                        // 000000006E5C: D1D30369 05A61F0E
	v_max3_f32 v105, |v16|, |v17|, v105                        // 000000006E64: D1D30369 05A62310
	v_max3_f32 v105, |v18|, |v19|, v105                        // 000000006E6C: D1D30369 05A62712
	v_rcp_f32_e32 v105, v105                                   // 000000006E74: 7ED24569
	v_mov_b32_e32 v4, 0x43700000                               // 000000006E78: 7E0802FF 43700000
	v_mul_f32_e32 v105, v4, v105                               // 000000006E80: 0AD2D304
	v_mov_b32_e32 v4, v105                                     // 000000006E84: 7E080369
	v_mov_b32_e32 v5, v4                                       // 000000006E88: 7E0A0304
	v_pk_mul_f32 v[68:69], v[4:5], v[68:69]                    // 000000006E8C: D3B14044 18028904
	v_pk_mul_f32 v[70:71], v[4:5], v[70:71]                    // 000000006E94: D3B14046 18028D04
	v_cvt_pk_fp8_f32 v68, v68, v69                             // 000000006E9C: D2A20044 00028B44
	v_cvt_pk_fp8_f32 v68, v70, v71 op_sel:[0,0,1]              // 000000006EA4: D2A24044 00028F46
	v_pk_mul_f32 v[88:89], v[4:5], v[88:89]                    // 000000006EAC: D3B14058 1802B104
	v_pk_mul_f32 v[90:91], v[4:5], v[90:91]                    // 000000006EB4: D3B1405A 1802B504
	v_cvt_pk_fp8_f32 v88, v88, v89                             // 000000006EBC: D2A20058 0002B358
	v_cvt_pk_fp8_f32 v88, v90, v91 op_sel:[0,0,1]              // 000000006EC4: D2A24058 0002B75A
	v_rcp_f32_e32 v105, v105                                   // 000000006ECC: 7ED24569
	v_mov_b32_e32 v106, 0x358637bd                             // 000000006ED0: 7ED402FF 358637BD
	v_max3_f32 v106, |v72|, |v73|, v106                        // 000000006ED8: D1D3036A 05AA9348
	v_max3_f32 v106, |v74|, |v75|, v106                        // 000000006EE0: D1D3036A 05AA974A
	v_max3_f32 v106, |v92|, |v93|, v106                        // 000000006EE8: D1D3036A 05AABB5C
	v_max3_f32 v106, |v94|, |v95|, v106                        // 000000006EF0: D1D3036A 05AABF5E
	ds_write_b32 v109, v106                                    // 000000006EF8: D81A0000 00006A6D
	s_waitcnt lgkmcnt(0)                                       // 000000006F00: BF8CC07F
	s_barrier                                                  // 000000006F04: BF8A0000
	ds_read_b32 v4, v110                                       // 000000006F08: D86C0000 0400006E
	ds_read_b32 v5, v110 offset:64                             // 000000006F10: D86C0040 0500006E
	ds_read_b32 v6, v110 offset:128                            // 000000006F18: D86C0080 0600006E
	ds_read_b32 v7, v110 offset:192                            // 000000006F20: D86C00C0 0700006E
	ds_read_b32 v8, v110 offset:256                            // 000000006F28: D86C0100 0800006E
	ds_read_b32 v9, v110 offset:320                            // 000000006F30: D86C0140 0900006E
	ds_read_b32 v10, v110 offset:384                           // 000000006F38: D86C0180 0A00006E
	ds_read_b32 v11, v110 offset:448                           // 000000006F40: D86C01C0 0B00006E
	ds_read_b32 v12, v110 offset:512                           // 000000006F48: D86C0200 0C00006E
	ds_read_b32 v13, v110 offset:576                           // 000000006F50: D86C0240 0D00006E
	ds_read_b32 v14, v110 offset:640                           // 000000006F58: D86C0280 0E00006E
	ds_read_b32 v15, v110 offset:704                           // 000000006F60: D86C02C0 0F00006E
	ds_read_b32 v16, v110 offset:768                           // 000000006F68: D86C0300 1000006E
	ds_read_b32 v17, v110 offset:832                           // 000000006F70: D86C0340 1100006E
	ds_read_b32 v18, v110 offset:896                           // 000000006F78: D86C0380 1200006E
	ds_read_b32 v19, v110 offset:960                           // 000000006F80: D86C03C0 1300006E
	s_waitcnt lgkmcnt(0)                                       // 000000006F88: BF8CC07F
	s_barrier                                                  // 000000006F8C: BF8A0000
	v_max3_f32 v106, |v4|, |v5|, v106                          // 000000006F90: D1D3036A 05AA0B04
	v_max3_f32 v106, |v6|, |v7|, v106                          // 000000006F98: D1D3036A 05AA0F06
	v_max3_f32 v106, |v8|, |v9|, v106                          // 000000006FA0: D1D3036A 05AA1308
	v_max3_f32 v106, |v10|, |v11|, v106                        // 000000006FA8: D1D3036A 05AA170A
	v_max3_f32 v106, |v12|, |v13|, v106                        // 000000006FB0: D1D3036A 05AA1B0C
	v_max3_f32 v106, |v14|, |v15|, v106                        // 000000006FB8: D1D3036A 05AA1F0E
	v_max3_f32 v106, |v16|, |v17|, v106                        // 000000006FC0: D1D3036A 05AA2310
	v_max3_f32 v106, |v18|, |v19|, v106                        // 000000006FC8: D1D3036A 05AA2712
	v_rcp_f32_e32 v106, v106                                   // 000000006FD0: 7ED4456A
	v_mov_b32_e32 v4, 0x43700000                               // 000000006FD4: 7E0802FF 43700000
	v_mul_f32_e32 v106, v4, v106                               // 000000006FDC: 0AD4D504
	v_mov_b32_e32 v4, v106                                     // 000000006FE0: 7E08036A
	v_mov_b32_e32 v5, v4                                       // 000000006FE4: 7E0A0304
	v_pk_mul_f32 v[72:73], v[4:5], v[72:73]                    // 000000006FE8: D3B14048 18029104
	v_pk_mul_f32 v[74:75], v[4:5], v[74:75]                    // 000000006FF0: D3B1404A 18029504
	v_cvt_pk_fp8_f32 v72, v72, v73                             // 000000006FF8: D2A20048 00029348
	v_cvt_pk_fp8_f32 v72, v74, v75 op_sel:[0,0,1]              // 000000007000: D2A24048 0002974A
	v_pk_mul_f32 v[92:93], v[4:5], v[92:93]                    // 000000007008: D3B1405C 1802B904
	v_pk_mul_f32 v[94:95], v[4:5], v[94:95]                    // 000000007010: D3B1405E 1802BD04
	v_cvt_pk_fp8_f32 v92, v92, v93                             // 000000007018: D2A2005C 0002BB5C
	v_cvt_pk_fp8_f32 v92, v94, v95 op_sel:[0,0,1]              // 000000007020: D2A2405C 0002BF5E
	v_rcp_f32_e32 v106, v106                                   // 000000007028: 7ED4456A
	v_mov_b32_e32 v107, 0x358637bd                             // 00000000702C: 7ED602FF 358637BD
	v_max3_f32 v107, |v76|, |v77|, v107                        // 000000007034: D1D3036B 05AE9B4C
	v_max3_f32 v107, |v78|, |v79|, v107                        // 00000000703C: D1D3036B 05AE9F4E
	v_max3_f32 v107, |v96|, |v97|, v107                        // 000000007044: D1D3036B 05AEC360
	v_max3_f32 v107, |v98|, |v99|, v107                        // 00000000704C: D1D3036B 05AEC762
	ds_write_b32 v109, v107                                    // 000000007054: D81A0000 00006B6D
	s_waitcnt lgkmcnt(0)                                       // 00000000705C: BF8CC07F
	s_barrier                                                  // 000000007060: BF8A0000
	ds_read_b32 v4, v110                                       // 000000007064: D86C0000 0400006E
	ds_read_b32 v5, v110 offset:64                             // 00000000706C: D86C0040 0500006E
	ds_read_b32 v6, v110 offset:128                            // 000000007074: D86C0080 0600006E
	ds_read_b32 v7, v110 offset:192                            // 00000000707C: D86C00C0 0700006E
	ds_read_b32 v8, v110 offset:256                            // 000000007084: D86C0100 0800006E
	ds_read_b32 v9, v110 offset:320                            // 00000000708C: D86C0140 0900006E
	ds_read_b32 v10, v110 offset:384                           // 000000007094: D86C0180 0A00006E
	ds_read_b32 v11, v110 offset:448                           // 00000000709C: D86C01C0 0B00006E
	ds_read_b32 v12, v110 offset:512                           // 0000000070A4: D86C0200 0C00006E
	ds_read_b32 v13, v110 offset:576                           // 0000000070AC: D86C0240 0D00006E
	ds_read_b32 v14, v110 offset:640                           // 0000000070B4: D86C0280 0E00006E
	ds_read_b32 v15, v110 offset:704                           // 0000000070BC: D86C02C0 0F00006E
	ds_read_b32 v16, v110 offset:768                           // 0000000070C4: D86C0300 1000006E
	ds_read_b32 v17, v110 offset:832                           // 0000000070CC: D86C0340 1100006E
	ds_read_b32 v18, v110 offset:896                           // 0000000070D4: D86C0380 1200006E
	ds_read_b32 v19, v110 offset:960                           // 0000000070DC: D86C03C0 1300006E
	s_waitcnt lgkmcnt(0)                                       // 0000000070E4: BF8CC07F
	s_barrier                                                  // 0000000070E8: BF8A0000
	v_max3_f32 v107, |v4|, |v5|, v107                          // 0000000070EC: D1D3036B 05AE0B04
	v_max3_f32 v107, |v6|, |v7|, v107                          // 0000000070F4: D1D3036B 05AE0F06
	v_max3_f32 v107, |v8|, |v9|, v107                          // 0000000070FC: D1D3036B 05AE1308
	v_max3_f32 v107, |v10|, |v11|, v107                        // 000000007104: D1D3036B 05AE170A
	v_max3_f32 v107, |v12|, |v13|, v107                        // 00000000710C: D1D3036B 05AE1B0C
	v_max3_f32 v107, |v14|, |v15|, v107                        // 000000007114: D1D3036B 05AE1F0E
	v_max3_f32 v107, |v16|, |v17|, v107                        // 00000000711C: D1D3036B 05AE2310
	v_max3_f32 v107, |v18|, |v19|, v107                        // 000000007124: D1D3036B 05AE2712
	v_rcp_f32_e32 v107, v107                                   // 00000000712C: 7ED6456B
	v_mov_b32_e32 v4, 0x43700000                               // 000000007130: 7E0802FF 43700000
	v_mul_f32_e32 v107, v4, v107                               // 000000007138: 0AD6D704
	v_mov_b32_e32 v4, v107                                     // 00000000713C: 7E08036B
	v_mov_b32_e32 v5, v4                                       // 000000007140: 7E0A0304
	v_pk_mul_f32 v[76:77], v[4:5], v[76:77]                    // 000000007144: D3B1404C 18029904
	v_pk_mul_f32 v[78:79], v[4:5], v[78:79]                    // 00000000714C: D3B1404E 18029D04
	v_cvt_pk_fp8_f32 v76, v76, v77                             // 000000007154: D2A2004C 00029B4C
	v_cvt_pk_fp8_f32 v76, v78, v79 op_sel:[0,0,1]              // 00000000715C: D2A2404C 00029F4E
	v_pk_mul_f32 v[96:97], v[4:5], v[96:97]                    // 000000007164: D3B14060 1802C104
	v_pk_mul_f32 v[98:99], v[4:5], v[98:99]                    // 00000000716C: D3B14062 1802C504
	v_cvt_pk_fp8_f32 v96, v96, v97                             // 000000007174: D2A20060 0002C360
	v_cvt_pk_fp8_f32 v96, v98, v99 op_sel:[0,0,1]              // 00000000717C: D2A24060 0002C762
	v_rcp_f32_e32 v107, v107                                   // 000000007184: 7ED6456B
	v_mov_b32_e32 v108, 0x358637bd                             // 000000007188: 7ED802FF 358637BD
	v_max3_f32 v108, |v80|, |v81|, v108                        // 000000007190: D1D3036C 05B2A350
	v_max3_f32 v108, |v82|, |v83|, v108                        // 000000007198: D1D3036C 05B2A752
	v_max3_f32 v108, |v100|, |v101|, v108                      // 0000000071A0: D1D3036C 05B2CB64
	v_max3_f32 v108, |v102|, |v103|, v108                      // 0000000071A8: D1D3036C 05B2CF66
	ds_write_b32 v109, v108                                    // 0000000071B0: D81A0000 00006C6D
	s_waitcnt lgkmcnt(0)                                       // 0000000071B8: BF8CC07F
	s_barrier                                                  // 0000000071BC: BF8A0000
	ds_read_b32 v4, v110                                       // 0000000071C0: D86C0000 0400006E
	ds_read_b32 v5, v110 offset:64                             // 0000000071C8: D86C0040 0500006E
	ds_read_b32 v6, v110 offset:128                            // 0000000071D0: D86C0080 0600006E
	ds_read_b32 v7, v110 offset:192                            // 0000000071D8: D86C00C0 0700006E
	ds_read_b32 v8, v110 offset:256                            // 0000000071E0: D86C0100 0800006E
	ds_read_b32 v9, v110 offset:320                            // 0000000071E8: D86C0140 0900006E
	ds_read_b32 v10, v110 offset:384                           // 0000000071F0: D86C0180 0A00006E
	ds_read_b32 v11, v110 offset:448                           // 0000000071F8: D86C01C0 0B00006E
	ds_read_b32 v12, v110 offset:512                           // 000000007200: D86C0200 0C00006E
	ds_read_b32 v13, v110 offset:576                           // 000000007208: D86C0240 0D00006E
	ds_read_b32 v14, v110 offset:640                           // 000000007210: D86C0280 0E00006E
	ds_read_b32 v15, v110 offset:704                           // 000000007218: D86C02C0 0F00006E
	ds_read_b32 v16, v110 offset:768                           // 000000007220: D86C0300 1000006E
	ds_read_b32 v17, v110 offset:832                           // 000000007228: D86C0340 1100006E
	ds_read_b32 v18, v110 offset:896                           // 000000007230: D86C0380 1200006E
	ds_read_b32 v19, v110 offset:960                           // 000000007238: D86C03C0 1300006E
	s_waitcnt lgkmcnt(0)                                       // 000000007240: BF8CC07F
	s_barrier                                                  // 000000007244: BF8A0000
	v_max3_f32 v108, |v4|, |v5|, v108                          // 000000007248: D1D3036C 05B20B04
	v_max3_f32 v108, |v6|, |v7|, v108                          // 000000007250: D1D3036C 05B20F06
	v_max3_f32 v108, |v8|, |v9|, v108                          // 000000007258: D1D3036C 05B21308
	v_max3_f32 v108, |v10|, |v11|, v108                        // 000000007260: D1D3036C 05B2170A
	v_max3_f32 v108, |v12|, |v13|, v108                        // 000000007268: D1D3036C 05B21B0C
	v_max3_f32 v108, |v14|, |v15|, v108                        // 000000007270: D1D3036C 05B21F0E
	v_max3_f32 v108, |v16|, |v17|, v108                        // 000000007278: D1D3036C 05B22310
	v_max3_f32 v108, |v18|, |v19|, v108                        // 000000007280: D1D3036C 05B22712
	v_rcp_f32_e32 v108, v108                                   // 000000007288: 7ED8456C
	v_mov_b32_e32 v4, 0x43700000                               // 00000000728C: 7E0802FF 43700000
	v_mul_f32_e32 v108, v4, v108                               // 000000007294: 0AD8D904
	v_mov_b32_e32 v4, v108                                     // 000000007298: 7E08036C
	v_mov_b32_e32 v5, v4                                       // 00000000729C: 7E0A0304
	v_pk_mul_f32 v[80:81], v[4:5], v[80:81]                    // 0000000072A0: D3B14050 1802A104
	v_pk_mul_f32 v[82:83], v[4:5], v[82:83]                    // 0000000072A8: D3B14052 1802A504
	v_cvt_pk_fp8_f32 v80, v80, v81                             // 0000000072B0: D2A20050 0002A350
	v_cvt_pk_fp8_f32 v80, v82, v83 op_sel:[0,0,1]              // 0000000072B8: D2A24050 0002A752
	v_pk_mul_f32 v[100:101], v[4:5], v[100:101]                // 0000000072C0: D3B14064 1802C904
	v_pk_mul_f32 v[102:103], v[4:5], v[102:103]                // 0000000072C8: D3B14066 1802CD04
	v_cvt_pk_fp8_f32 v100, v100, v101                          // 0000000072D0: D2A20064 0002CB64
	v_cvt_pk_fp8_f32 v100, v102, v103 op_sel:[0,0,1]           // 0000000072D8: D2A24064 0002CF66
	v_rcp_f32_e32 v108, v108                                   // 0000000072E0: 7ED8456C
	v_lshrrev_b32_e32 v4, 5, v0                                // 0000000072E4: 20080085
	v_mul_lo_u32 v20, 34, v4                                   // 0000000072E8: D2850014 000208A2
	v_and_b32_e32 v4, 31, v0                                   // 0000000072F0: 2608009F
	v_lshrrev_b32_e32 v5, 4, v4                                // 0000000072F4: 200A0884
	v_add_u32_e32 v20, v5, v20                                 // 0000000072F8: 68282905
	v_and_b32_e32 v4, 15, v0                                   // 0000000072FC: 2608008F
	v_mul_lo_u32 v5, 2, v4                                     // 000000007300: D2850005 00020882
	v_add_u32_e32 v20, v5, v20                                 // 000000007308: 68282905
	s_mul_i32 s60, s7, 0x44                                    // 00000000730C: 923CFF07 00000044
	v_add_u32_e32 v20, s60, v20                                // 000000007314: 6828283C
	v_lshlrev_b32_e32 v20, 2, v20                              // 000000007318: 24282882
	ds_write_b32 v20, v64                                      // 00000000731C: D81A0000 00004014
	ds_write_b32 v20, v68 offset:2176                          // 000000007324: D81A0880 00004414
	ds_write_b32 v20, v72 offset:4352                          // 00000000732C: D81A1100 00004814
	ds_write_b32 v20, v76 offset:6528                          // 000000007334: D81A1980 00004C14
	ds_write_b32 v20, v80 offset:8704                          // 00000000733C: D81A2200 00005014
	ds_write_b32 v20, v84 offset:1088                          // 000000007344: D81A0440 00005414
	ds_write_b32 v20, v88 offset:3264                          // 00000000734C: D81A0CC0 00005814
	ds_write_b32 v20, v92 offset:5440                          // 000000007354: D81A1540 00005C14
	ds_write_b32 v20, v96 offset:7616                          // 00000000735C: D81A1DC0 00006014
	ds_write_b32 v20, v100 offset:9792                         // 000000007364: D81A2640 00006414
	v_lshrrev_b32_e32 v4, 5, v0                                // 00000000736C: 20080085
	v_xor_b32_e32 v5, 1, v4                                    // 000000007370: 2A0A0881
	s_mul_i32 s60, s65, 1                                      // 000000007374: 923C8141
	s_cmp_eq_u32 s88, 0                                        // 000000007378: BF068058
	s_cselect_b32 s61, 1, 8                                    // 00000000737C: 853D8881
	s_mul_i32 s60, s61, s60                                    // 000000007380: 923C3C3D
	v_readlane_b32 s82, v3, 0                                  // 000000007384: D2890052 00010103
	s_lshr_b32 s61, s82, 24                                    // 00000000738C: 8F3D9852
	s_and_b32 s82, s82, 0xffffff                               // 000000007390: 8652FF52 00FFFFFF
	s_mul_i32 s82, s82, s71                                    // 000000007398: 92524752
	s_mul_i32 s61, s60, s61                                    // 00000000739C: 923D3D3C
	s_add_u32 s82, s82, s61                                    // 0000000073A0: 80523D52
	v_mul_lo_u32 v6, v5, s82                                   // 0000000073A4: D2850006 0000A505
	v_readlane_b32 s82, v3, 1                                  // 0000000073AC: D2890052 00010303
	s_lshr_b32 s61, s82, 24                                    // 0000000073B4: 8F3D9852
	s_and_b32 s82, s82, 0xffffff                               // 0000000073B8: 8652FF52 00FFFFFF
	s_mul_i32 s82, s82, s71                                    // 0000000073C0: 92524752
	s_mul_i32 s61, s60, s61                                    // 0000000073C4: 923D3D3C
	s_add_u32 s82, s82, s61                                    // 0000000073C8: 80523D52
	v_mul_lo_u32 v7, v4, s82                                   // 0000000073CC: D2850007 0000A504
	v_add_u32_e32 v50, v6, v7                                  // 0000000073D4: 68640F06
	v_readlane_b32 s82, v3, 2                                  // 0000000073D8: D2890052 00010503
	s_lshr_b32 s61, s82, 24                                    // 0000000073E0: 8F3D9852
	s_and_b32 s82, s82, 0xffffff                               // 0000000073E4: 8652FF52 00FFFFFF
	s_mul_i32 s82, s82, s71                                    // 0000000073EC: 92524752
	s_mul_i32 s61, s60, s61                                    // 0000000073F0: 923D3D3C
	s_add_u32 s82, s82, s61                                    // 0000000073F4: 80523D52
	v_mul_lo_u32 v6, v5, s82                                   // 0000000073F8: D2850006 0000A505
	v_readlane_b32 s82, v3, 3                                  // 000000007400: D2890052 00010703
	s_lshr_b32 s61, s82, 24                                    // 000000007408: 8F3D9852
	s_and_b32 s82, s82, 0xffffff                               // 00000000740C: 8652FF52 00FFFFFF
	s_mul_i32 s82, s82, s71                                    // 000000007414: 92524752
	s_mul_i32 s61, s60, s61                                    // 000000007418: 923D3D3C
	s_add_u32 s82, s82, s61                                    // 00000000741C: 80523D52
	v_mul_lo_u32 v7, v4, s82                                   // 000000007420: D2850007 0000A504
	v_add_u32_e32 v51, v6, v7                                  // 000000007428: 68660F06
	v_readlane_b32 s82, v3, 4                                  // 00000000742C: D2890052 00010903
	s_lshr_b32 s61, s82, 24                                    // 000000007434: 8F3D9852
	s_and_b32 s82, s82, 0xffffff                               // 000000007438: 8652FF52 00FFFFFF
	s_mul_i32 s82, s82, s71                                    // 000000007440: 92524752
	s_mul_i32 s61, s60, s61                                    // 000000007444: 923D3D3C
	s_add_u32 s82, s82, s61                                    // 000000007448: 80523D52
	v_mul_lo_u32 v6, v5, s82                                   // 00000000744C: D2850006 0000A505
	v_readlane_b32 s82, v3, 5                                  // 000000007454: D2890052 00010B03
	s_lshr_b32 s61, s82, 24                                    // 00000000745C: 8F3D9852
	s_and_b32 s82, s82, 0xffffff                               // 000000007460: 8652FF52 00FFFFFF
	s_mul_i32 s82, s82, s71                                    // 000000007468: 92524752
	s_mul_i32 s61, s60, s61                                    // 00000000746C: 923D3D3C
	s_add_u32 s82, s82, s61                                    // 000000007470: 80523D52
	v_mul_lo_u32 v7, v4, s82                                   // 000000007474: D2850007 0000A504
	v_add_u32_e32 v52, v6, v7                                  // 00000000747C: 68680F06
	v_readlane_b32 s82, v3, 6                                  // 000000007480: D2890052 00010D03
	s_lshr_b32 s61, s82, 24                                    // 000000007488: 8F3D9852
	s_and_b32 s82, s82, 0xffffff                               // 00000000748C: 8652FF52 00FFFFFF
	s_mul_i32 s82, s82, s71                                    // 000000007494: 92524752
	s_mul_i32 s61, s60, s61                                    // 000000007498: 923D3D3C
	s_add_u32 s82, s82, s61                                    // 00000000749C: 80523D52
	v_mul_lo_u32 v6, v5, s82                                   // 0000000074A0: D2850006 0000A505
	v_readlane_b32 s82, v3, 7                                  // 0000000074A8: D2890052 00010F03
	s_lshr_b32 s61, s82, 24                                    // 0000000074B0: 8F3D9852
	s_and_b32 s82, s82, 0xffffff                               // 0000000074B4: 8652FF52 00FFFFFF
	s_mul_i32 s82, s82, s71                                    // 0000000074BC: 92524752
	s_mul_i32 s61, s60, s61                                    // 0000000074C0: 923D3D3C
	s_add_u32 s82, s82, s61                                    // 0000000074C4: 80523D52
	v_mul_lo_u32 v7, v4, s82                                   // 0000000074C8: D2850007 0000A504
	v_add_u32_e32 v53, v6, v7                                  // 0000000074D0: 686A0F06
	v_readlane_b32 s82, v3, 8                                  // 0000000074D4: D2890052 00011103
	s_lshr_b32 s61, s82, 24                                    // 0000000074DC: 8F3D9852
	s_and_b32 s82, s82, 0xffffff                               // 0000000074E0: 8652FF52 00FFFFFF
	s_mul_i32 s82, s82, s71                                    // 0000000074E8: 92524752
	s_mul_i32 s61, s60, s61                                    // 0000000074EC: 923D3D3C
	s_add_u32 s82, s82, s61                                    // 0000000074F0: 80523D52
	v_mul_lo_u32 v6, v5, s82                                   // 0000000074F4: D2850006 0000A505
	v_readlane_b32 s82, v3, 9                                  // 0000000074FC: D2890052 00011303
	s_lshr_b32 s61, s82, 24                                    // 000000007504: 8F3D9852
	s_and_b32 s82, s82, 0xffffff                               // 000000007508: 8652FF52 00FFFFFF
	s_mul_i32 s82, s82, s71                                    // 000000007510: 92524752
	s_mul_i32 s61, s60, s61                                    // 000000007514: 923D3D3C
	s_add_u32 s82, s82, s61                                    // 000000007518: 80523D52
	v_mul_lo_u32 v7, v4, s82                                   // 00000000751C: D2850007 0000A504
	v_add_u32_e32 v54, v6, v7                                  // 000000007524: 686C0F06
	v_readlane_b32 s82, v3, 10                                 // 000000007528: D2890052 00011503
	s_lshr_b32 s61, s82, 24                                    // 000000007530: 8F3D9852
	s_and_b32 s82, s82, 0xffffff                               // 000000007534: 8652FF52 00FFFFFF
	s_mul_i32 s82, s82, s71                                    // 00000000753C: 92524752
	s_mul_i32 s61, s60, s61                                    // 000000007540: 923D3D3C
	s_add_u32 s82, s82, s61                                    // 000000007544: 80523D52
	v_mul_lo_u32 v6, v5, s82                                   // 000000007548: D2850006 0000A505
	v_readlane_b32 s82, v3, 11                                 // 000000007550: D2890052 00011703
	s_lshr_b32 s61, s82, 24                                    // 000000007558: 8F3D9852
	s_and_b32 s82, s82, 0xffffff                               // 00000000755C: 8652FF52 00FFFFFF
	s_mul_i32 s82, s82, s71                                    // 000000007564: 92524752
	s_mul_i32 s61, s60, s61                                    // 000000007568: 923D3D3C
	s_add_u32 s82, s82, s61                                    // 00000000756C: 80523D52
	v_mul_lo_u32 v7, v4, s82                                   // 000000007570: D2850007 0000A504
	v_add_u32_e32 v55, v6, v7                                  // 000000007578: 686E0F06
	v_readlane_b32 s82, v3, 12                                 // 00000000757C: D2890052 00011903
	s_lshr_b32 s61, s82, 24                                    // 000000007584: 8F3D9852
	s_and_b32 s82, s82, 0xffffff                               // 000000007588: 8652FF52 00FFFFFF
	s_mul_i32 s82, s82, s71                                    // 000000007590: 92524752
	s_mul_i32 s61, s60, s61                                    // 000000007594: 923D3D3C
	s_add_u32 s82, s82, s61                                    // 000000007598: 80523D52
	v_mul_lo_u32 v6, v5, s82                                   // 00000000759C: D2850006 0000A505
	v_readlane_b32 s82, v3, 13                                 // 0000000075A4: D2890052 00011B03
	s_lshr_b32 s61, s82, 24                                    // 0000000075AC: 8F3D9852
	s_and_b32 s82, s82, 0xffffff                               // 0000000075B0: 8652FF52 00FFFFFF
	s_mul_i32 s82, s82, s71                                    // 0000000075B8: 92524752
	s_mul_i32 s61, s60, s61                                    // 0000000075BC: 923D3D3C
	s_add_u32 s82, s82, s61                                    // 0000000075C0: 80523D52
	v_mul_lo_u32 v7, v4, s82                                   // 0000000075C4: D2850007 0000A504
	v_add_u32_e32 v56, v6, v7                                  // 0000000075CC: 68700F06
	v_readlane_b32 s82, v3, 14                                 // 0000000075D0: D2890052 00011D03
	s_lshr_b32 s61, s82, 24                                    // 0000000075D8: 8F3D9852
	s_and_b32 s82, s82, 0xffffff                               // 0000000075DC: 8652FF52 00FFFFFF
	s_mul_i32 s82, s82, s71                                    // 0000000075E4: 92524752
	s_mul_i32 s61, s60, s61                                    // 0000000075E8: 923D3D3C
	s_add_u32 s82, s82, s61                                    // 0000000075EC: 80523D52
	v_mul_lo_u32 v6, v5, s82                                   // 0000000075F0: D2850006 0000A505
	v_readlane_b32 s82, v3, 15                                 // 0000000075F8: D2890052 00011F03
	s_lshr_b32 s61, s82, 24                                    // 000000007600: 8F3D9852
	s_and_b32 s82, s82, 0xffffff                               // 000000007604: 8652FF52 00FFFFFF
	s_mul_i32 s82, s82, s71                                    // 00000000760C: 92524752
	s_mul_i32 s61, s60, s61                                    // 000000007610: 923D3D3C
	s_add_u32 s82, s82, s61                                    // 000000007614: 80523D52
	v_mul_lo_u32 v7, v4, s82                                   // 000000007618: D2850007 0000A504
	v_add_u32_e32 v57, v6, v7                                  // 000000007620: 68720F06
	v_readlane_b32 s82, v3, 16                                 // 000000007624: D2890052 00012103
	s_lshr_b32 s61, s82, 24                                    // 00000000762C: 8F3D9852
	s_and_b32 s82, s82, 0xffffff                               // 000000007630: 8652FF52 00FFFFFF
	s_mul_i32 s82, s82, s71                                    // 000000007638: 92524752
	s_mul_i32 s61, s60, s61                                    // 00000000763C: 923D3D3C
	s_add_u32 s82, s82, s61                                    // 000000007640: 80523D52
	v_mul_lo_u32 v6, v5, s82                                   // 000000007644: D2850006 0000A505
	v_readlane_b32 s82, v3, 17                                 // 00000000764C: D2890052 00012303
	s_lshr_b32 s61, s82, 24                                    // 000000007654: 8F3D9852
	s_and_b32 s82, s82, 0xffffff                               // 000000007658: 8652FF52 00FFFFFF
	s_mul_i32 s82, s82, s71                                    // 000000007660: 92524752
	s_mul_i32 s61, s60, s61                                    // 000000007664: 923D3D3C
	s_add_u32 s82, s82, s61                                    // 000000007668: 80523D52
	v_mul_lo_u32 v7, v4, s82                                   // 00000000766C: D2850007 0000A504
	v_add_u32_e32 v58, v6, v7                                  // 000000007674: 68740F06
	v_readlane_b32 s82, v3, 18                                 // 000000007678: D2890052 00012503
	s_lshr_b32 s61, s82, 24                                    // 000000007680: 8F3D9852
	s_and_b32 s82, s82, 0xffffff                               // 000000007684: 8652FF52 00FFFFFF
	s_mul_i32 s82, s82, s71                                    // 00000000768C: 92524752
	s_mul_i32 s61, s60, s61                                    // 000000007690: 923D3D3C
	s_add_u32 s82, s82, s61                                    // 000000007694: 80523D52
	v_mul_lo_u32 v6, v5, s82                                   // 000000007698: D2850006 0000A505
	v_readlane_b32 s82, v3, 19                                 // 0000000076A0: D2890052 00012703
	s_lshr_b32 s61, s82, 24                                    // 0000000076A8: 8F3D9852
	s_and_b32 s82, s82, 0xffffff                               // 0000000076AC: 8652FF52 00FFFFFF
	s_mul_i32 s82, s82, s71                                    // 0000000076B4: 92524752
	s_mul_i32 s61, s60, s61                                    // 0000000076B8: 923D3D3C
	s_add_u32 s82, s82, s61                                    // 0000000076BC: 80523D52
	v_mul_lo_u32 v7, v4, s82                                   // 0000000076C0: D2850007 0000A504
	v_add_u32_e32 v59, v6, v7                                  // 0000000076C8: 68760F06
	v_and_b32_e32 v4, 31, v0                                   // 0000000076CC: 2608009F
	v_lshrrev_b32_e32 v4, 1, v4                                // 0000000076D0: 20080881
	s_cmp_eq_u32 s88, 0                                        // 0000000076D4: BF068058
	s_cselect_b32 s61, 2, 4                                    // 0000000076D8: 853D8482
	v_mul_lo_u32 v4, v4, s61                                   // 0000000076DC: D2850004 00007B04
	v_and_b32_e64 v5, v0, 1                                    // 0000000076E4: D1130005 00010300
	v_add_u32_e32 v4, v4, v5                                   // 0000000076EC: 68080B04
	v_lshlrev_b32_e32 v4, 2, v4                                // 0000000076F0: 24080882
	v_add_u32_e32 v50, v50, v4                                 // 0000000076F4: 68640932
	v_add_u32_e32 v51, v51, v4                                 // 0000000076F8: 68660933
	v_add_u32_e32 v52, v52, v4                                 // 0000000076FC: 68680934
	v_add_u32_e32 v53, v53, v4                                 // 000000007700: 686A0935
	v_add_u32_e32 v54, v54, v4                                 // 000000007704: 686C0936
	v_add_u32_e32 v55, v55, v4                                 // 000000007708: 686E0937
	v_add_u32_e32 v56, v56, v4                                 // 00000000770C: 68700938
	v_add_u32_e32 v57, v57, v4                                 // 000000007710: 68720939
	v_add_u32_e32 v58, v58, v4                                 // 000000007714: 6874093A
	v_add_u32_e32 v59, v59, v4                                 // 000000007718: 6876093B
	s_waitcnt lgkmcnt(0)                                       // 00000000771C: BF8CC07F
	s_barrier                                                  // 000000007720: BF8A0000
	ds_read_b32 v64, v21                                       // 000000007724: D86C0000 40000015
	ds_read_b32 v65, v21 offset:64                             // 00000000772C: D86C0040 41000015
	ds_read_b32 v66, v21 offset:2176                           // 000000007734: D86C0880 42000015
	ds_read_b32 v67, v21 offset:2240                           // 00000000773C: D86C08C0 43000015
	ds_read_b32 v68, v21 offset:4352                           // 000000007744: D86C1100 44000015
	ds_read_b32 v69, v21 offset:4416                           // 00000000774C: D86C1140 45000015
	ds_read_b32 v70, v21 offset:6528                           // 000000007754: D86C1980 46000015
	ds_read_b32 v71, v21 offset:6592                           // 00000000775C: D86C19C0 47000015
	ds_read_b32 v72, v21 offset:8704                           // 000000007764: D86C2200 48000015
	ds_read_b32 v73, v21 offset:8768                           // 00000000776C: D86C2240 49000015
	s_waitcnt lgkmcnt(0)                                       // 000000007774: BF8CC07F
	s_mov_b32 s36, -1                                          // 000000007778: BEA400C1
	s_mov_b32 s37, -1                                          // 00000000777C: BEA500C1
	v_mov_b32_e32 v7, 0                                        // 000000007780: 7E0E0280
	s_or_b32 s9, s9, 0x40000                                   // 000000007784: 8709FF09 00040000
	s_mov_b64 exec, s[36:37]                                   // 00000000778C: BEFE0124
	v_mov_b32_e32 v6, v50                                      // 000000007790: 7E0C0332
	s_mov_b64 s[60:61], 0                                      // 000000007794: BEBC0180
	v_readlane_b32 s82, v3, 0                                  // 000000007798: D2890052 00010103
	s_and_b32 s82, s82, 0xffffff                               // 0000000077A0: 8652FF52 00FFFFFF
	s_cmp_lt_u32 s82, s66                                      // 0000000077A8: BF0A4252
	s_cselect_b32 s20, s36, s60                                // 0000000077AC: 85143C24
	v_readlane_b32 s82, v3, 1                                  // 0000000077B0: D2890052 00010303
	s_and_b32 s82, s82, 0xffffff                               // 0000000077B8: 8652FF52 00FFFFFF
	s_cmp_lt_u32 s82, s66                                      // 0000000077C0: BF0A4252
	s_cselect_b32 s21, s36, s60                                // 0000000077C4: 85153C24
	s_mov_b64 exec, s[20:21]                                   // 0000000077C8: BEFE0114
	buffer_store_dword v64, v6, s[8:11], 0 offen               // 0000000077CC: E0701000 80024006
	s_mov_b64 exec, s[36:37]                                   // 0000000077D4: BEFE0124
	v_mov_b32_e32 v6, v51                                      // 0000000077D8: 7E0C0333
	s_mov_b64 s[60:61], 0                                      // 0000000077DC: BEBC0180
	v_readlane_b32 s82, v3, 2                                  // 0000000077E0: D2890052 00010503
	s_and_b32 s82, s82, 0xffffff                               // 0000000077E8: 8652FF52 00FFFFFF
	s_cmp_lt_u32 s82, s66                                      // 0000000077F0: BF0A4252
	s_cselect_b32 s20, s36, s60                                // 0000000077F4: 85143C24
	v_readlane_b32 s82, v3, 3                                  // 0000000077F8: D2890052 00010703
	s_and_b32 s82, s82, 0xffffff                               // 000000007800: 8652FF52 00FFFFFF
	s_cmp_lt_u32 s82, s66                                      // 000000007808: BF0A4252
	s_cselect_b32 s21, s36, s60                                // 00000000780C: 85153C24
	s_mov_b64 exec, s[20:21]                                   // 000000007810: BEFE0114
	buffer_store_dword v65, v6, s[8:11], 0 offen               // 000000007814: E0701000 80024106
	s_mov_b64 exec, s[36:37]                                   // 00000000781C: BEFE0124
	v_mov_b32_e32 v6, v52                                      // 000000007820: 7E0C0334
	s_mov_b64 s[60:61], 0                                      // 000000007824: BEBC0180
	v_readlane_b32 s82, v3, 4                                  // 000000007828: D2890052 00010903
	s_and_b32 s82, s82, 0xffffff                               // 000000007830: 8652FF52 00FFFFFF
	s_cmp_lt_u32 s82, s66                                      // 000000007838: BF0A4252
	s_cselect_b32 s20, s36, s60                                // 00000000783C: 85143C24
	v_readlane_b32 s82, v3, 5                                  // 000000007840: D2890052 00010B03
	s_and_b32 s82, s82, 0xffffff                               // 000000007848: 8652FF52 00FFFFFF
	s_cmp_lt_u32 s82, s66                                      // 000000007850: BF0A4252
	s_cselect_b32 s21, s36, s60                                // 000000007854: 85153C24
	s_mov_b64 exec, s[20:21]                                   // 000000007858: BEFE0114
	buffer_store_dword v66, v6, s[8:11], 0 offen               // 00000000785C: E0701000 80024206
	s_mov_b64 exec, s[36:37]                                   // 000000007864: BEFE0124
	v_mov_b32_e32 v6, v53                                      // 000000007868: 7E0C0335
	s_mov_b64 s[60:61], 0                                      // 00000000786C: BEBC0180
	v_readlane_b32 s82, v3, 6                                  // 000000007870: D2890052 00010D03
	s_and_b32 s82, s82, 0xffffff                               // 000000007878: 8652FF52 00FFFFFF
	s_cmp_lt_u32 s82, s66                                      // 000000007880: BF0A4252
	s_cselect_b32 s20, s36, s60                                // 000000007884: 85143C24
	v_readlane_b32 s82, v3, 7                                  // 000000007888: D2890052 00010F03
	s_and_b32 s82, s82, 0xffffff                               // 000000007890: 8652FF52 00FFFFFF
	s_cmp_lt_u32 s82, s66                                      // 000000007898: BF0A4252
	s_cselect_b32 s21, s36, s60                                // 00000000789C: 85153C24
	s_mov_b64 exec, s[20:21]                                   // 0000000078A0: BEFE0114
	buffer_store_dword v67, v6, s[8:11], 0 offen               // 0000000078A4: E0701000 80024306
	s_mov_b64 exec, s[36:37]                                   // 0000000078AC: BEFE0124
	v_mov_b32_e32 v6, v54                                      // 0000000078B0: 7E0C0336
	s_mov_b64 s[60:61], 0                                      // 0000000078B4: BEBC0180
	v_readlane_b32 s82, v3, 8                                  // 0000000078B8: D2890052 00011103
	s_and_b32 s82, s82, 0xffffff                               // 0000000078C0: 8652FF52 00FFFFFF
	s_cmp_lt_u32 s82, s66                                      // 0000000078C8: BF0A4252
	s_cselect_b32 s20, s36, s60                                // 0000000078CC: 85143C24
	v_readlane_b32 s82, v3, 9                                  // 0000000078D0: D2890052 00011303
	s_and_b32 s82, s82, 0xffffff                               // 0000000078D8: 8652FF52 00FFFFFF
	s_cmp_lt_u32 s82, s66                                      // 0000000078E0: BF0A4252
	s_cselect_b32 s21, s36, s60                                // 0000000078E4: 85153C24
	s_mov_b64 exec, s[20:21]                                   // 0000000078E8: BEFE0114
	buffer_store_dword v68, v6, s[8:11], 0 offen               // 0000000078EC: E0701000 80024406
	s_mov_b64 exec, s[36:37]                                   // 0000000078F4: BEFE0124
	v_mov_b32_e32 v6, v55                                      // 0000000078F8: 7E0C0337
	s_mov_b64 s[60:61], 0                                      // 0000000078FC: BEBC0180
	v_readlane_b32 s82, v3, 10                                 // 000000007900: D2890052 00011503
	s_and_b32 s82, s82, 0xffffff                               // 000000007908: 8652FF52 00FFFFFF
	s_cmp_lt_u32 s82, s66                                      // 000000007910: BF0A4252
	s_cselect_b32 s20, s36, s60                                // 000000007914: 85143C24
	v_readlane_b32 s82, v3, 11                                 // 000000007918: D2890052 00011703
	s_and_b32 s82, s82, 0xffffff                               // 000000007920: 8652FF52 00FFFFFF
	s_cmp_lt_u32 s82, s66                                      // 000000007928: BF0A4252
	s_cselect_b32 s21, s36, s60                                // 00000000792C: 85153C24
	s_mov_b64 exec, s[20:21]                                   // 000000007930: BEFE0114
	buffer_store_dword v69, v6, s[8:11], 0 offen               // 000000007934: E0701000 80024506
	s_mov_b64 exec, s[36:37]                                   // 00000000793C: BEFE0124
	v_mov_b32_e32 v6, v56                                      // 000000007940: 7E0C0338
	s_mov_b64 s[60:61], 0                                      // 000000007944: BEBC0180
	v_readlane_b32 s82, v3, 12                                 // 000000007948: D2890052 00011903
	s_and_b32 s82, s82, 0xffffff                               // 000000007950: 8652FF52 00FFFFFF
	s_cmp_lt_u32 s82, s66                                      // 000000007958: BF0A4252
	s_cselect_b32 s20, s36, s60                                // 00000000795C: 85143C24
	v_readlane_b32 s82, v3, 13                                 // 000000007960: D2890052 00011B03
	s_and_b32 s82, s82, 0xffffff                               // 000000007968: 8652FF52 00FFFFFF
	s_cmp_lt_u32 s82, s66                                      // 000000007970: BF0A4252
	s_cselect_b32 s21, s36, s60                                // 000000007974: 85153C24
	s_mov_b64 exec, s[20:21]                                   // 000000007978: BEFE0114
	buffer_store_dword v70, v6, s[8:11], 0 offen               // 00000000797C: E0701000 80024606
	s_mov_b64 exec, s[36:37]                                   // 000000007984: BEFE0124
	v_mov_b32_e32 v6, v57                                      // 000000007988: 7E0C0339
	s_mov_b64 s[60:61], 0                                      // 00000000798C: BEBC0180
	v_readlane_b32 s82, v3, 14                                 // 000000007990: D2890052 00011D03
	s_and_b32 s82, s82, 0xffffff                               // 000000007998: 8652FF52 00FFFFFF
	s_cmp_lt_u32 s82, s66                                      // 0000000079A0: BF0A4252
	s_cselect_b32 s20, s36, s60                                // 0000000079A4: 85143C24
	v_readlane_b32 s82, v3, 15                                 // 0000000079A8: D2890052 00011F03
	s_and_b32 s82, s82, 0xffffff                               // 0000000079B0: 8652FF52 00FFFFFF
	s_cmp_lt_u32 s82, s66                                      // 0000000079B8: BF0A4252
	s_cselect_b32 s21, s36, s60                                // 0000000079BC: 85153C24
	s_mov_b64 exec, s[20:21]                                   // 0000000079C0: BEFE0114
	buffer_store_dword v71, v6, s[8:11], 0 offen               // 0000000079C4: E0701000 80024706
	s_mov_b64 exec, s[36:37]                                   // 0000000079CC: BEFE0124
	v_mov_b32_e32 v6, v58                                      // 0000000079D0: 7E0C033A
	s_mov_b64 s[60:61], 0                                      // 0000000079D4: BEBC0180
	v_readlane_b32 s82, v3, 16                                 // 0000000079D8: D2890052 00012103
	s_and_b32 s82, s82, 0xffffff                               // 0000000079E0: 8652FF52 00FFFFFF
	s_cmp_lt_u32 s82, s66                                      // 0000000079E8: BF0A4252
	s_cselect_b32 s20, s36, s60                                // 0000000079EC: 85143C24
	v_readlane_b32 s82, v3, 17                                 // 0000000079F0: D2890052 00012303
	s_and_b32 s82, s82, 0xffffff                               // 0000000079F8: 8652FF52 00FFFFFF
	s_cmp_lt_u32 s82, s66                                      // 000000007A00: BF0A4252
	s_cselect_b32 s21, s36, s60                                // 000000007A04: 85153C24
	s_mov_b64 exec, s[20:21]                                   // 000000007A08: BEFE0114
	buffer_store_dword v72, v6, s[8:11], 0 offen               // 000000007A0C: E0701000 80024806
	s_mov_b64 exec, s[36:37]                                   // 000000007A14: BEFE0124
	v_mov_b32_e32 v6, v59                                      // 000000007A18: 7E0C033B
	s_mov_b64 s[60:61], 0                                      // 000000007A1C: BEBC0180
	v_readlane_b32 s82, v3, 18                                 // 000000007A20: D2890052 00012503
	s_and_b32 s82, s82, 0xffffff                               // 000000007A28: 8652FF52 00FFFFFF
	s_cmp_lt_u32 s82, s66                                      // 000000007A30: BF0A4252
	s_cselect_b32 s20, s36, s60                                // 000000007A34: 85143C24
	v_readlane_b32 s82, v3, 19                                 // 000000007A38: D2890052 00012703
	s_and_b32 s82, s82, 0xffffff                               // 000000007A40: 8652FF52 00FFFFFF
	s_cmp_lt_u32 s82, s66                                      // 000000007A48: BF0A4252
	s_cselect_b32 s21, s36, s60                                // 000000007A4C: 85153C24
	s_mov_b64 exec, s[20:21]                                   // 000000007A50: BEFE0114
	buffer_store_dword v73, v6, s[8:11], 0 offen               // 000000007A54: E0701000 80024906
	s_mov_b64 exec, s[36:37]                                   // 000000007A5C: BEFE0124
	s_cmp_eq_u32 s7, 0                                         // 000000007A60: BF068007
	s_cbranch_scc0 label_3020                                  // 000000007A64: BF841C03
	s_waitcnt vmcnt(10)                                        // 000000007A68: BF8C0F7A
	s_mov_b32 s8, s90                                          // 000000007A6C: BE88005A
	s_mov_b32 s9, s91                                          // 000000007A70: BE89005B
	s_mul_i32 s60, s66, s71                                    // 000000007A74: 923C4742
	s_add_u32 s8, s60, s8                                      // 000000007A78: 8008083C
	s_addc_u32 s9, 0, s9                                       // 000000007A7C: 82090980
	s_lshr_b32 s71, s71, 5                                     // 000000007A80: 8F478547
	s_mul_i32 s60, s66, s71                                    // 000000007A84: 923C4742
	s_mov_b32 s10, s60                                         // 000000007A88: BE8A003C
	s_lshr_b32 s61, s65, 5                                     // 000000007A8C: 8F3D8541
	s_mul_i32 s60, s2, 4                                       // 000000007A90: 923C8402
	v_lshrrev_b32_e32 v4, 24, v30                              // 000000007A94: 20083C98
	v_mul_lo_u32 v4, s61, v4                                   // 000000007A98: D2850004 0002083D
	v_and_b32_e32 v30, 0xffffff, v30                           // 000000007AA0: 263C3CFF 00FFFFFF
	v_mul_lo_u32 v30, s71, v30                                 // 000000007AA8: D285001E 00023C47
	v_add_u32_e32 v30, v4, v30                                 // 000000007AB0: 683C3D04
	v_add_u32_e32 v30, s60, v30                                // 000000007AB4: 683C3C3C
	v_lshrrev_b32_e32 v4, 24, v31                              // 000000007AB8: 20083E98
	v_mul_lo_u32 v4, s61, v4                                   // 000000007ABC: D2850004 0002083D
	v_and_b32_e32 v31, 0xffffff, v31                           // 000000007AC4: 263E3EFF 00FFFFFF
	v_mul_lo_u32 v31, s71, v31                                 // 000000007ACC: D285001F 00023E47
	v_add_u32_e32 v31, v4, v31                                 // 000000007AD4: 683E3F04
	v_add_u32_e32 v31, s60, v31                                // 000000007AD8: 683E3E3C
	v_lshrrev_b32_e32 v4, 24, v32                              // 000000007ADC: 20084098
	v_mul_lo_u32 v4, s61, v4                                   // 000000007AE0: D2850004 0002083D
	v_and_b32_e32 v32, 0xffffff, v32                           // 000000007AE8: 264040FF 00FFFFFF
	v_mul_lo_u32 v32, s71, v32                                 // 000000007AF0: D2850020 00024047
	v_add_u32_e32 v32, v4, v32                                 // 000000007AF8: 68404104
	v_add_u32_e32 v32, s60, v32                                // 000000007AFC: 6840403C
	v_lshrrev_b32_e32 v4, 24, v33                              // 000000007B00: 20084298
	v_mul_lo_u32 v4, s61, v4                                   // 000000007B04: D2850004 0002083D
	v_and_b32_e32 v33, 0xffffff, v33                           // 000000007B0C: 264242FF 00FFFFFF
	v_mul_lo_u32 v33, s71, v33                                 // 000000007B14: D2850021 00024247
	v_add_u32_e32 v33, v4, v33                                 // 000000007B1C: 68424304
	v_add_u32_e32 v33, s60, v33                                // 000000007B20: 6842423C
	v_lshrrev_b32_e32 v4, 24, v34                              // 000000007B24: 20084498
	v_mul_lo_u32 v4, s61, v4                                   // 000000007B28: D2850004 0002083D
	v_and_b32_e32 v34, 0xffffff, v34                           // 000000007B30: 264444FF 00FFFFFF
	v_mul_lo_u32 v34, s71, v34                                 // 000000007B38: D2850022 00024447
	v_add_u32_e32 v34, v4, v34                                 // 000000007B40: 68444504
	v_add_u32_e32 v34, s60, v34                                // 000000007B44: 6844443C
	s_mov_b64 exec, 0xffff                                     // 000000007B48: BEFE01FF 0000FFFF
	buffer_store_dword v104, v30, s[8:11], 0 offen             // 000000007B50: E0701000 8002681E
	buffer_store_dword v105, v31, s[8:11], 0 offen             // 000000007B58: E0701000 8002691F
	buffer_store_dword v106, v32, s[8:11], 0 offen             // 000000007B60: E0701000 80026A20
	buffer_store_dword v107, v33, s[8:11], 0 offen             // 000000007B68: E0701000 80026B21
	buffer_store_dword v108, v34, s[8:11], 0 offen             // 000000007B70: E0701000 80026C22
	s_mov_b64 exec, s[36:37]                                   // 000000007B78: BEFE0124
	s_branch label_3020                                        // 000000007B7C: BF821BBD

0000000000007b80 <label_1460>:
	ds_write_b64 v20, v[64:65]                                 // 000000007B80: D89A0000 00004014
	ds_write_b64 v20, v[68:69] offset:4352                     // 000000007B88: D89A1100 00004414
	ds_write_b64 v20, v[72:73] offset:8704                     // 000000007B90: D89A2200 00004814
	ds_write_b64 v20, v[76:77] offset:13056                    // 000000007B98: D89A3300 00004C14
	ds_write_b64 v20, v[80:81] offset:17408                    // 000000007BA0: D89A4400 00005014
	ds_write_b64 v20, v[84:85] offset:2176                     // 000000007BA8: D89A0880 00005414
	ds_write_b64 v20, v[88:89] offset:6528                     // 000000007BB0: D89A1980 00005814
	ds_write_b64 v20, v[92:93] offset:10880                    // 000000007BB8: D89A2A80 00005C14
	ds_write_b64 v20, v[96:97] offset:15232                    // 000000007BC0: D89A3B80 00006014
	ds_write_b64 v20, v[100:101] offset:19584                  // 000000007BC8: D89A4C80 00006414
	v_lshrrev_b32_e32 v4, 5, v0                                // 000000007BD0: 20080085
	v_xor_b32_e32 v5, 1, v4                                    // 000000007BD4: 2A0A0881
	s_mul_i32 s60, s65, 1                                      // 000000007BD8: 923C8141
	s_cmp_eq_u32 s88, 0                                        // 000000007BDC: BF068058
	s_cselect_b32 s61, 1, 8                                    // 000000007BE0: 853D8881
	s_mul_i32 s60, s61, s60                                    // 000000007BE4: 923C3C3D
	v_readlane_b32 s82, v3, 0                                  // 000000007BE8: D2890052 00010103
	s_lshr_b32 s61, s82, 24                                    // 000000007BF0: 8F3D9852
	s_and_b32 s82, s82, 0xffffff                               // 000000007BF4: 8652FF52 00FFFFFF
	s_mul_i32 s82, s82, s71                                    // 000000007BFC: 92524752
	s_mul_i32 s61, s60, s61                                    // 000000007C00: 923D3D3C
	s_add_u32 s82, s82, s61                                    // 000000007C04: 80523D52
	v_mul_lo_u32 v6, v5, s82                                   // 000000007C08: D2850006 0000A505
	v_readlane_b32 s82, v3, 1                                  // 000000007C10: D2890052 00010303
	s_lshr_b32 s61, s82, 24                                    // 000000007C18: 8F3D9852
	s_and_b32 s82, s82, 0xffffff                               // 000000007C1C: 8652FF52 00FFFFFF
	s_mul_i32 s82, s82, s71                                    // 000000007C24: 92524752
	s_mul_i32 s61, s60, s61                                    // 000000007C28: 923D3D3C
	s_add_u32 s82, s82, s61                                    // 000000007C2C: 80523D52
	v_mul_lo_u32 v7, v4, s82                                   // 000000007C30: D2850007 0000A504
	v_add_u32_e32 v50, v6, v7                                  // 000000007C38: 68640F06
	v_readlane_b32 s82, v3, 2                                  // 000000007C3C: D2890052 00010503
	s_lshr_b32 s61, s82, 24                                    // 000000007C44: 8F3D9852
	s_and_b32 s82, s82, 0xffffff                               // 000000007C48: 8652FF52 00FFFFFF
	s_mul_i32 s82, s82, s71                                    // 000000007C50: 92524752
	s_mul_i32 s61, s60, s61                                    // 000000007C54: 923D3D3C
	s_add_u32 s82, s82, s61                                    // 000000007C58: 80523D52
	v_mul_lo_u32 v6, v5, s82                                   // 000000007C5C: D2850006 0000A505
	v_readlane_b32 s82, v3, 3                                  // 000000007C64: D2890052 00010703
	s_lshr_b32 s61, s82, 24                                    // 000000007C6C: 8F3D9852
	s_and_b32 s82, s82, 0xffffff                               // 000000007C70: 8652FF52 00FFFFFF
	s_mul_i32 s82, s82, s71                                    // 000000007C78: 92524752
	s_mul_i32 s61, s60, s61                                    // 000000007C7C: 923D3D3C
	s_add_u32 s82, s82, s61                                    // 000000007C80: 80523D52
	v_mul_lo_u32 v7, v4, s82                                   // 000000007C84: D2850007 0000A504
	v_add_u32_e32 v51, v6, v7                                  // 000000007C8C: 68660F06
	v_readlane_b32 s82, v3, 4                                  // 000000007C90: D2890052 00010903
	s_lshr_b32 s61, s82, 24                                    // 000000007C98: 8F3D9852
	s_and_b32 s82, s82, 0xffffff                               // 000000007C9C: 8652FF52 00FFFFFF
	s_mul_i32 s82, s82, s71                                    // 000000007CA4: 92524752
	s_mul_i32 s61, s60, s61                                    // 000000007CA8: 923D3D3C
	s_add_u32 s82, s82, s61                                    // 000000007CAC: 80523D52
	v_mul_lo_u32 v6, v5, s82                                   // 000000007CB0: D2850006 0000A505
	v_readlane_b32 s82, v3, 5                                  // 000000007CB8: D2890052 00010B03
	s_lshr_b32 s61, s82, 24                                    // 000000007CC0: 8F3D9852
	s_and_b32 s82, s82, 0xffffff                               // 000000007CC4: 8652FF52 00FFFFFF
	s_mul_i32 s82, s82, s71                                    // 000000007CCC: 92524752
	s_mul_i32 s61, s60, s61                                    // 000000007CD0: 923D3D3C
	s_add_u32 s82, s82, s61                                    // 000000007CD4: 80523D52
	v_mul_lo_u32 v7, v4, s82                                   // 000000007CD8: D2850007 0000A504
	v_add_u32_e32 v52, v6, v7                                  // 000000007CE0: 68680F06
	v_readlane_b32 s82, v3, 6                                  // 000000007CE4: D2890052 00010D03
	s_lshr_b32 s61, s82, 24                                    // 000000007CEC: 8F3D9852
	s_and_b32 s82, s82, 0xffffff                               // 000000007CF0: 8652FF52 00FFFFFF
	s_mul_i32 s82, s82, s71                                    // 000000007CF8: 92524752
	s_mul_i32 s61, s60, s61                                    // 000000007CFC: 923D3D3C
	s_add_u32 s82, s82, s61                                    // 000000007D00: 80523D52
	v_mul_lo_u32 v6, v5, s82                                   // 000000007D04: D2850006 0000A505
	v_readlane_b32 s82, v3, 7                                  // 000000007D0C: D2890052 00010F03
	s_lshr_b32 s61, s82, 24                                    // 000000007D14: 8F3D9852
	s_and_b32 s82, s82, 0xffffff                               // 000000007D18: 8652FF52 00FFFFFF
	s_mul_i32 s82, s82, s71                                    // 000000007D20: 92524752
	s_mul_i32 s61, s60, s61                                    // 000000007D24: 923D3D3C
	s_add_u32 s82, s82, s61                                    // 000000007D28: 80523D52
	v_mul_lo_u32 v7, v4, s82                                   // 000000007D2C: D2850007 0000A504
	v_add_u32_e32 v53, v6, v7                                  // 000000007D34: 686A0F06
	v_readlane_b32 s82, v3, 8                                  // 000000007D38: D2890052 00011103
	s_lshr_b32 s61, s82, 24                                    // 000000007D40: 8F3D9852
	s_and_b32 s82, s82, 0xffffff                               // 000000007D44: 8652FF52 00FFFFFF
	s_mul_i32 s82, s82, s71                                    // 000000007D4C: 92524752
	s_mul_i32 s61, s60, s61                                    // 000000007D50: 923D3D3C
	s_add_u32 s82, s82, s61                                    // 000000007D54: 80523D52
	v_mul_lo_u32 v6, v5, s82                                   // 000000007D58: D2850006 0000A505
	v_readlane_b32 s82, v3, 9                                  // 000000007D60: D2890052 00011303
	s_lshr_b32 s61, s82, 24                                    // 000000007D68: 8F3D9852
	s_and_b32 s82, s82, 0xffffff                               // 000000007D6C: 8652FF52 00FFFFFF
	s_mul_i32 s82, s82, s71                                    // 000000007D74: 92524752
	s_mul_i32 s61, s60, s61                                    // 000000007D78: 923D3D3C
	s_add_u32 s82, s82, s61                                    // 000000007D7C: 80523D52
	v_mul_lo_u32 v7, v4, s82                                   // 000000007D80: D2850007 0000A504
	v_add_u32_e32 v54, v6, v7                                  // 000000007D88: 686C0F06
	v_readlane_b32 s82, v3, 10                                 // 000000007D8C: D2890052 00011503
	s_lshr_b32 s61, s82, 24                                    // 000000007D94: 8F3D9852
	s_and_b32 s82, s82, 0xffffff                               // 000000007D98: 8652FF52 00FFFFFF
	s_mul_i32 s82, s82, s71                                    // 000000007DA0: 92524752
	s_mul_i32 s61, s60, s61                                    // 000000007DA4: 923D3D3C
	s_add_u32 s82, s82, s61                                    // 000000007DA8: 80523D52
	v_mul_lo_u32 v6, v5, s82                                   // 000000007DAC: D2850006 0000A505
	v_readlane_b32 s82, v3, 11                                 // 000000007DB4: D2890052 00011703
	s_lshr_b32 s61, s82, 24                                    // 000000007DBC: 8F3D9852
	s_and_b32 s82, s82, 0xffffff                               // 000000007DC0: 8652FF52 00FFFFFF
	s_mul_i32 s82, s82, s71                                    // 000000007DC8: 92524752
	s_mul_i32 s61, s60, s61                                    // 000000007DCC: 923D3D3C
	s_add_u32 s82, s82, s61                                    // 000000007DD0: 80523D52
	v_mul_lo_u32 v7, v4, s82                                   // 000000007DD4: D2850007 0000A504
	v_add_u32_e32 v55, v6, v7                                  // 000000007DDC: 686E0F06
	v_readlane_b32 s82, v3, 12                                 // 000000007DE0: D2890052 00011903
	s_lshr_b32 s61, s82, 24                                    // 000000007DE8: 8F3D9852
	s_and_b32 s82, s82, 0xffffff                               // 000000007DEC: 8652FF52 00FFFFFF
	s_mul_i32 s82, s82, s71                                    // 000000007DF4: 92524752
	s_mul_i32 s61, s60, s61                                    // 000000007DF8: 923D3D3C
	s_add_u32 s82, s82, s61                                    // 000000007DFC: 80523D52
	v_mul_lo_u32 v6, v5, s82                                   // 000000007E00: D2850006 0000A505
	v_readlane_b32 s82, v3, 13                                 // 000000007E08: D2890052 00011B03
	s_lshr_b32 s61, s82, 24                                    // 000000007E10: 8F3D9852
	s_and_b32 s82, s82, 0xffffff                               // 000000007E14: 8652FF52 00FFFFFF
	s_mul_i32 s82, s82, s71                                    // 000000007E1C: 92524752
	s_mul_i32 s61, s60, s61                                    // 000000007E20: 923D3D3C
	s_add_u32 s82, s82, s61                                    // 000000007E24: 80523D52
	v_mul_lo_u32 v7, v4, s82                                   // 000000007E28: D2850007 0000A504
	v_add_u32_e32 v56, v6, v7                                  // 000000007E30: 68700F06
	v_readlane_b32 s82, v3, 14                                 // 000000007E34: D2890052 00011D03
	s_lshr_b32 s61, s82, 24                                    // 000000007E3C: 8F3D9852
	s_and_b32 s82, s82, 0xffffff                               // 000000007E40: 8652FF52 00FFFFFF
	s_mul_i32 s82, s82, s71                                    // 000000007E48: 92524752
	s_mul_i32 s61, s60, s61                                    // 000000007E4C: 923D3D3C
	s_add_u32 s82, s82, s61                                    // 000000007E50: 80523D52
	v_mul_lo_u32 v6, v5, s82                                   // 000000007E54: D2850006 0000A505
	v_readlane_b32 s82, v3, 15                                 // 000000007E5C: D2890052 00011F03
	s_lshr_b32 s61, s82, 24                                    // 000000007E64: 8F3D9852
	s_and_b32 s82, s82, 0xffffff                               // 000000007E68: 8652FF52 00FFFFFF
	s_mul_i32 s82, s82, s71                                    // 000000007E70: 92524752
	s_mul_i32 s61, s60, s61                                    // 000000007E74: 923D3D3C
	s_add_u32 s82, s82, s61                                    // 000000007E78: 80523D52
	v_mul_lo_u32 v7, v4, s82                                   // 000000007E7C: D2850007 0000A504
	v_add_u32_e32 v57, v6, v7                                  // 000000007E84: 68720F06
	v_readlane_b32 s82, v3, 16                                 // 000000007E88: D2890052 00012103
	s_lshr_b32 s61, s82, 24                                    // 000000007E90: 8F3D9852
	s_and_b32 s82, s82, 0xffffff                               // 000000007E94: 8652FF52 00FFFFFF
	s_mul_i32 s82, s82, s71                                    // 000000007E9C: 92524752
	s_mul_i32 s61, s60, s61                                    // 000000007EA0: 923D3D3C
	s_add_u32 s82, s82, s61                                    // 000000007EA4: 80523D52
	v_mul_lo_u32 v6, v5, s82                                   // 000000007EA8: D2850006 0000A505
	v_readlane_b32 s82, v3, 17                                 // 000000007EB0: D2890052 00012303
	s_lshr_b32 s61, s82, 24                                    // 000000007EB8: 8F3D9852
	s_and_b32 s82, s82, 0xffffff                               // 000000007EBC: 8652FF52 00FFFFFF
	s_mul_i32 s82, s82, s71                                    // 000000007EC4: 92524752
	s_mul_i32 s61, s60, s61                                    // 000000007EC8: 923D3D3C
	s_add_u32 s82, s82, s61                                    // 000000007ECC: 80523D52
	v_mul_lo_u32 v7, v4, s82                                   // 000000007ED0: D2850007 0000A504
	v_add_u32_e32 v58, v6, v7                                  // 000000007ED8: 68740F06
	v_readlane_b32 s82, v3, 18                                 // 000000007EDC: D2890052 00012503
	s_lshr_b32 s61, s82, 24                                    // 000000007EE4: 8F3D9852
	s_and_b32 s82, s82, 0xffffff                               // 000000007EE8: 8652FF52 00FFFFFF
	s_mul_i32 s82, s82, s71                                    // 000000007EF0: 92524752
	s_mul_i32 s61, s60, s61                                    // 000000007EF4: 923D3D3C
	s_add_u32 s82, s82, s61                                    // 000000007EF8: 80523D52
	v_mul_lo_u32 v6, v5, s82                                   // 000000007EFC: D2850006 0000A505
	v_readlane_b32 s82, v3, 19                                 // 000000007F04: D2890052 00012703
	s_lshr_b32 s61, s82, 24                                    // 000000007F0C: 8F3D9852
	s_and_b32 s82, s82, 0xffffff                               // 000000007F10: 8652FF52 00FFFFFF
	s_mul_i32 s82, s82, s71                                    // 000000007F18: 92524752
	s_mul_i32 s61, s60, s61                                    // 000000007F1C: 923D3D3C
	s_add_u32 s82, s82, s61                                    // 000000007F20: 80523D52
	v_mul_lo_u32 v7, v4, s82                                   // 000000007F24: D2850007 0000A504
	v_add_u32_e32 v59, v6, v7                                  // 000000007F2C: 68760F06
	v_and_b32_e32 v4, 31, v0                                   // 000000007F30: 2608009F
	v_lshrrev_b32_e32 v4, 1, v4                                // 000000007F34: 20080881
	s_cmp_eq_u32 s88, 0                                        // 000000007F38: BF068058
	s_cselect_b32 s61, 2, 4                                    // 000000007F3C: 853D8482
	v_mul_lo_u32 v4, v4, s61                                   // 000000007F40: D2850004 00007B04
	v_and_b32_e64 v5, v0, 1                                    // 000000007F48: D1130005 00010300
	v_add_u32_e32 v4, v4, v5                                   // 000000007F50: 68080B04
	v_lshlrev_b32_e32 v4, 2, v4                                // 000000007F54: 24080882
	v_add_u32_e32 v50, v50, v4                                 // 000000007F58: 68640932
	v_add_u32_e32 v51, v51, v4                                 // 000000007F5C: 68660933
	v_add_u32_e32 v52, v52, v4                                 // 000000007F60: 68680934
	v_add_u32_e32 v53, v53, v4                                 // 000000007F64: 686A0935
	v_add_u32_e32 v54, v54, v4                                 // 000000007F68: 686C0936
	v_add_u32_e32 v55, v55, v4                                 // 000000007F6C: 686E0937
	v_add_u32_e32 v56, v56, v4                                 // 000000007F70: 68700938
	v_add_u32_e32 v57, v57, v4                                 // 000000007F74: 68720939
	v_add_u32_e32 v58, v58, v4                                 // 000000007F78: 6874093A
	v_add_u32_e32 v59, v59, v4                                 // 000000007F7C: 6876093B
	s_waitcnt lgkmcnt(0)                                       // 000000007F80: BF8CC07F
	s_barrier                                                  // 000000007F84: BF8A0000
	ds_read_b32 v64, v21                                       // 000000007F88: D86C0000 40000015
	ds_read_b32 v65, v21 offset:64                             // 000000007F90: D86C0040 41000015
	ds_read_b32 v68, v21 offset:2176                           // 000000007F98: D86C0880 44000015
	ds_read_b32 v69, v21 offset:2240                           // 000000007FA0: D86C08C0 45000015
	ds_read_b32 v72, v21 offset:4352                           // 000000007FA8: D86C1100 48000015
	ds_read_b32 v73, v21 offset:4416                           // 000000007FB0: D86C1140 49000015
	ds_read_b32 v76, v21 offset:6528                           // 000000007FB8: D86C1980 4C000015
	ds_read_b32 v77, v21 offset:6592                           // 000000007FC0: D86C19C0 4D000015
	ds_read_b32 v80, v21 offset:8704                           // 000000007FC8: D86C2200 50000015
	ds_read_b32 v81, v21 offset:8768                           // 000000007FD0: D86C2240 51000015
	ds_read_b32 v84, v21 offset:10880                          // 000000007FD8: D86C2A80 54000015
	ds_read_b32 v85, v21 offset:10944                          // 000000007FE0: D86C2AC0 55000015
	ds_read_b32 v88, v21 offset:13056                          // 000000007FE8: D86C3300 58000015
	ds_read_b32 v89, v21 offset:13120                          // 000000007FF0: D86C3340 59000015
	ds_read_b32 v92, v21 offset:15232                          // 000000007FF8: D86C3B80 5C000015
	ds_read_b32 v93, v21 offset:15296                          // 000000008000: D86C3BC0 5D000015
	ds_read_b32 v96, v21 offset:17408                          // 000000008008: D86C4400 60000015
	ds_read_b32 v97, v21 offset:17472                          // 000000008010: D86C4440 61000015
	ds_read_b32 v100, v21 offset:19584                         // 000000008018: D86C4C80 64000015
	ds_read_b32 v101, v21 offset:19648                         // 000000008020: D86C4CC0 65000015
	s_waitcnt lgkmcnt(0)                                       // 000000008028: BF8CC07F
	s_mov_b32 s36, -1                                          // 00000000802C: BEA400C1
	s_mov_b32 s37, -1                                          // 000000008030: BEA500C1
	v_mov_b32_e32 v7, 0                                        // 000000008034: 7E0E0280
	s_mov_b64 exec, s[36:37]                                   // 000000008038: BEFE0124
	v_mov_b32_e32 v6, v50                                      // 00000000803C: 7E0C0332
	s_mov_b64 s[60:61], 0                                      // 000000008040: BEBC0180
	v_readlane_b32 s82, v3, 0                                  // 000000008044: D2890052 00010103
	s_and_b32 s82, s82, 0xffffff                               // 00000000804C: 8652FF52 00FFFFFF
	s_cmp_lt_u32 s82, s66                                      // 000000008054: BF0A4252
	s_cselect_b32 s20, s36, s60                                // 000000008058: 85143C24
	v_readlane_b32 s82, v3, 1                                  // 00000000805C: D2890052 00010303
	s_and_b32 s82, s82, 0xffffff                               // 000000008064: 8652FF52 00FFFFFF
	s_cmp_lt_u32 s82, s66                                      // 00000000806C: BF0A4252
	s_cselect_b32 s21, s36, s60                                // 000000008070: 85153C24
	s_mov_b64 exec, s[20:21]                                   // 000000008074: BEFE0114
	global_atomic_add_f32 v6, v64, s[8:9]                      // 000000008078: DD348000 00084006
	global_atomic_add_f32 v6, v68, s[8:9] offset:256           // 000000008080: DD348100 00084406
	s_mov_b64 exec, s[36:37]                                   // 000000008088: BEFE0124
	v_mov_b32_e32 v6, v51                                      // 00000000808C: 7E0C0333
	s_mov_b64 s[60:61], 0                                      // 000000008090: BEBC0180
	v_readlane_b32 s82, v3, 2                                  // 000000008094: D2890052 00010503
	s_and_b32 s82, s82, 0xffffff                               // 00000000809C: 8652FF52 00FFFFFF
	s_cmp_lt_u32 s82, s66                                      // 0000000080A4: BF0A4252
	s_cselect_b32 s20, s36, s60                                // 0000000080A8: 85143C24
	v_readlane_b32 s82, v3, 3                                  // 0000000080AC: D2890052 00010703
	s_and_b32 s82, s82, 0xffffff                               // 0000000080B4: 8652FF52 00FFFFFF
	s_cmp_lt_u32 s82, s66                                      // 0000000080BC: BF0A4252
	s_cselect_b32 s21, s36, s60                                // 0000000080C0: 85153C24
	s_mov_b64 exec, s[20:21]                                   // 0000000080C4: BEFE0114
	global_atomic_add_f32 v6, v65, s[8:9]                      // 0000000080C8: DD348000 00084106
	global_atomic_add_f32 v6, v69, s[8:9] offset:256           // 0000000080D0: DD348100 00084506
	s_mov_b64 exec, s[36:37]                                   // 0000000080D8: BEFE0124
	v_mov_b32_e32 v6, v52                                      // 0000000080DC: 7E0C0334
	s_mov_b64 s[60:61], 0                                      // 0000000080E0: BEBC0180
	v_readlane_b32 s82, v3, 4                                  // 0000000080E4: D2890052 00010903
	s_and_b32 s82, s82, 0xffffff                               // 0000000080EC: 8652FF52 00FFFFFF
	s_cmp_lt_u32 s82, s66                                      // 0000000080F4: BF0A4252
	s_cselect_b32 s20, s36, s60                                // 0000000080F8: 85143C24
	v_readlane_b32 s82, v3, 5                                  // 0000000080FC: D2890052 00010B03
	s_and_b32 s82, s82, 0xffffff                               // 000000008104: 8652FF52 00FFFFFF
	s_cmp_lt_u32 s82, s66                                      // 00000000810C: BF0A4252
	s_cselect_b32 s21, s36, s60                                // 000000008110: 85153C24
	s_mov_b64 exec, s[20:21]                                   // 000000008114: BEFE0114
	global_atomic_add_f32 v6, v72, s[8:9]                      // 000000008118: DD348000 00084806
	global_atomic_add_f32 v6, v76, s[8:9] offset:256           // 000000008120: DD348100 00084C06
	s_mov_b64 exec, s[36:37]                                   // 000000008128: BEFE0124
	v_mov_b32_e32 v6, v53                                      // 00000000812C: 7E0C0335
	s_mov_b64 s[60:61], 0                                      // 000000008130: BEBC0180
	v_readlane_b32 s82, v3, 6                                  // 000000008134: D2890052 00010D03
	s_and_b32 s82, s82, 0xffffff                               // 00000000813C: 8652FF52 00FFFFFF
	s_cmp_lt_u32 s82, s66                                      // 000000008144: BF0A4252
	s_cselect_b32 s20, s36, s60                                // 000000008148: 85143C24
	v_readlane_b32 s82, v3, 7                                  // 00000000814C: D2890052 00010F03
	s_and_b32 s82, s82, 0xffffff                               // 000000008154: 8652FF52 00FFFFFF
	s_cmp_lt_u32 s82, s66                                      // 00000000815C: BF0A4252
	s_cselect_b32 s21, s36, s60                                // 000000008160: 85153C24
	s_mov_b64 exec, s[20:21]                                   // 000000008164: BEFE0114
	global_atomic_add_f32 v6, v73, s[8:9]                      // 000000008168: DD348000 00084906
	global_atomic_add_f32 v6, v77, s[8:9] offset:256           // 000000008170: DD348100 00084D06
	s_mov_b64 exec, s[36:37]                                   // 000000008178: BEFE0124
	v_mov_b32_e32 v6, v54                                      // 00000000817C: 7E0C0336
	s_mov_b64 s[60:61], 0                                      // 000000008180: BEBC0180
	v_readlane_b32 s82, v3, 8                                  // 000000008184: D2890052 00011103
	s_and_b32 s82, s82, 0xffffff                               // 00000000818C: 8652FF52 00FFFFFF
	s_cmp_lt_u32 s82, s66                                      // 000000008194: BF0A4252
	s_cselect_b32 s20, s36, s60                                // 000000008198: 85143C24
	v_readlane_b32 s82, v3, 9                                  // 00000000819C: D2890052 00011303
	s_and_b32 s82, s82, 0xffffff                               // 0000000081A4: 8652FF52 00FFFFFF
	s_cmp_lt_u32 s82, s66                                      // 0000000081AC: BF0A4252
	s_cselect_b32 s21, s36, s60                                // 0000000081B0: 85153C24
	s_mov_b64 exec, s[20:21]                                   // 0000000081B4: BEFE0114
	global_atomic_add_f32 v6, v80, s[8:9]                      // 0000000081B8: DD348000 00085006
	global_atomic_add_f32 v6, v84, s[8:9] offset:256           // 0000000081C0: DD348100 00085406
	s_mov_b64 exec, s[36:37]                                   // 0000000081C8: BEFE0124
	v_mov_b32_e32 v6, v55                                      // 0000000081CC: 7E0C0337
	s_mov_b64 s[60:61], 0                                      // 0000000081D0: BEBC0180
	v_readlane_b32 s82, v3, 10                                 // 0000000081D4: D2890052 00011503
	s_and_b32 s82, s82, 0xffffff                               // 0000000081DC: 8652FF52 00FFFFFF
	s_cmp_lt_u32 s82, s66                                      // 0000000081E4: BF0A4252
	s_cselect_b32 s20, s36, s60                                // 0000000081E8: 85143C24
	v_readlane_b32 s82, v3, 11                                 // 0000000081EC: D2890052 00011703
	s_and_b32 s82, s82, 0xffffff                               // 0000000081F4: 8652FF52 00FFFFFF
	s_cmp_lt_u32 s82, s66                                      // 0000000081FC: BF0A4252
	s_cselect_b32 s21, s36, s60                                // 000000008200: 85153C24
	s_mov_b64 exec, s[20:21]                                   // 000000008204: BEFE0114
	global_atomic_add_f32 v6, v81, s[8:9]                      // 000000008208: DD348000 00085106
	global_atomic_add_f32 v6, v85, s[8:9] offset:256           // 000000008210: DD348100 00085506
	s_mov_b64 exec, s[36:37]                                   // 000000008218: BEFE0124
	v_mov_b32_e32 v6, v56                                      // 00000000821C: 7E0C0338
	s_mov_b64 s[60:61], 0                                      // 000000008220: BEBC0180
	v_readlane_b32 s82, v3, 12                                 // 000000008224: D2890052 00011903
	s_and_b32 s82, s82, 0xffffff                               // 00000000822C: 8652FF52 00FFFFFF
	s_cmp_lt_u32 s82, s66                                      // 000000008234: BF0A4252
	s_cselect_b32 s20, s36, s60                                // 000000008238: 85143C24
	v_readlane_b32 s82, v3, 13                                 // 00000000823C: D2890052 00011B03
	s_and_b32 s82, s82, 0xffffff                               // 000000008244: 8652FF52 00FFFFFF
	s_cmp_lt_u32 s82, s66                                      // 00000000824C: BF0A4252
	s_cselect_b32 s21, s36, s60                                // 000000008250: 85153C24
	s_mov_b64 exec, s[20:21]                                   // 000000008254: BEFE0114
	global_atomic_add_f32 v6, v88, s[8:9]                      // 000000008258: DD348000 00085806
	global_atomic_add_f32 v6, v92, s[8:9] offset:256           // 000000008260: DD348100 00085C06
	s_mov_b64 exec, s[36:37]                                   // 000000008268: BEFE0124
	v_mov_b32_e32 v6, v57                                      // 00000000826C: 7E0C0339
	s_mov_b64 s[60:61], 0                                      // 000000008270: BEBC0180
	v_readlane_b32 s82, v3, 14                                 // 000000008274: D2890052 00011D03
	s_and_b32 s82, s82, 0xffffff                               // 00000000827C: 8652FF52 00FFFFFF
	s_cmp_lt_u32 s82, s66                                      // 000000008284: BF0A4252
	s_cselect_b32 s20, s36, s60                                // 000000008288: 85143C24
	v_readlane_b32 s82, v3, 15                                 // 00000000828C: D2890052 00011F03
	s_and_b32 s82, s82, 0xffffff                               // 000000008294: 8652FF52 00FFFFFF
	s_cmp_lt_u32 s82, s66                                      // 00000000829C: BF0A4252
	s_cselect_b32 s21, s36, s60                                // 0000000082A0: 85153C24
	s_mov_b64 exec, s[20:21]                                   // 0000000082A4: BEFE0114
	global_atomic_add_f32 v6, v89, s[8:9]                      // 0000000082A8: DD348000 00085906
	global_atomic_add_f32 v6, v93, s[8:9] offset:256           // 0000000082B0: DD348100 00085D06
	s_mov_b64 exec, s[36:37]                                   // 0000000082B8: BEFE0124
	v_mov_b32_e32 v6, v58                                      // 0000000082BC: 7E0C033A
	s_mov_b64 s[60:61], 0                                      // 0000000082C0: BEBC0180
	v_readlane_b32 s82, v3, 16                                 // 0000000082C4: D2890052 00012103
	s_and_b32 s82, s82, 0xffffff                               // 0000000082CC: 8652FF52 00FFFFFF
	s_cmp_lt_u32 s82, s66                                      // 0000000082D4: BF0A4252
	s_cselect_b32 s20, s36, s60                                // 0000000082D8: 85143C24
	v_readlane_b32 s82, v3, 17                                 // 0000000082DC: D2890052 00012303
	s_and_b32 s82, s82, 0xffffff                               // 0000000082E4: 8652FF52 00FFFFFF
	s_cmp_lt_u32 s82, s66                                      // 0000000082EC: BF0A4252
	s_cselect_b32 s21, s36, s60                                // 0000000082F0: 85153C24
	s_mov_b64 exec, s[20:21]                                   // 0000000082F4: BEFE0114
	global_atomic_add_f32 v6, v96, s[8:9]                      // 0000000082F8: DD348000 00086006
	global_atomic_add_f32 v6, v100, s[8:9] offset:256          // 000000008300: DD348100 00086406
	s_mov_b64 exec, s[36:37]                                   // 000000008308: BEFE0124
	v_mov_b32_e32 v6, v59                                      // 00000000830C: 7E0C033B
	s_mov_b64 s[60:61], 0                                      // 000000008310: BEBC0180
	v_readlane_b32 s82, v3, 18                                 // 000000008314: D2890052 00012503
	s_and_b32 s82, s82, 0xffffff                               // 00000000831C: 8652FF52 00FFFFFF
	s_cmp_lt_u32 s82, s66                                      // 000000008324: BF0A4252
	s_cselect_b32 s20, s36, s60                                // 000000008328: 85143C24
	v_readlane_b32 s82, v3, 19                                 // 00000000832C: D2890052 00012703
	s_and_b32 s82, s82, 0xffffff                               // 000000008334: 8652FF52 00FFFFFF
	s_cmp_lt_u32 s82, s66                                      // 00000000833C: BF0A4252
	s_cselect_b32 s21, s36, s60                                // 000000008340: 85153C24
	s_mov_b64 exec, s[20:21]                                   // 000000008344: BEFE0114
	global_atomic_add_f32 v6, v97, s[8:9]                      // 000000008348: DD348000 00086106
	global_atomic_add_f32 v6, v101, s[8:9] offset:256          // 000000008350: DD348100 00086506
	s_mov_b64 exec, s[36:37]                                   // 000000008358: BEFE0124
	ds_write_b64 v20, v[66:67]                                 // 00000000835C: D89A0000 00004214
	ds_write_b64 v20, v[70:71] offset:4352                     // 000000008364: D89A1100 00004614
	ds_write_b64 v20, v[74:75] offset:8704                     // 00000000836C: D89A2200 00004A14
	ds_write_b64 v20, v[78:79] offset:13056                    // 000000008374: D89A3300 00004E14
	ds_write_b64 v20, v[82:83] offset:17408                    // 00000000837C: D89A4400 00005214
	ds_write_b64 v20, v[86:87] offset:2176                     // 000000008384: D89A0880 00005614
	ds_write_b64 v20, v[90:91] offset:6528                     // 00000000838C: D89A1980 00005A14
	ds_write_b64 v20, v[94:95] offset:10880                    // 000000008394: D89A2A80 00005E14
	ds_write_b64 v20, v[98:99] offset:15232                    // 00000000839C: D89A3B80 00006214
	ds_write_b64 v20, v[102:103] offset:19584                  // 0000000083A4: D89A4C80 00006614
	s_waitcnt lgkmcnt(0)                                       // 0000000083AC: BF8CC07F
	s_barrier                                                  // 0000000083B0: BF8A0000
	ds_read_b32 v66, v21                                       // 0000000083B4: D86C0000 42000015
	ds_read_b32 v67, v21 offset:64                             // 0000000083BC: D86C0040 43000015
	ds_read_b32 v70, v21 offset:2176                           // 0000000083C4: D86C0880 46000015
	ds_read_b32 v71, v21 offset:2240                           // 0000000083CC: D86C08C0 47000015
	ds_read_b32 v74, v21 offset:4352                           // 0000000083D4: D86C1100 4A000015
	ds_read_b32 v75, v21 offset:4416                           // 0000000083DC: D86C1140 4B000015
	ds_read_b32 v78, v21 offset:6528                           // 0000000083E4: D86C1980 4E000015
	ds_read_b32 v79, v21 offset:6592                           // 0000000083EC: D86C19C0 4F000015
	ds_read_b32 v82, v21 offset:8704                           // 0000000083F4: D86C2200 52000015
	ds_read_b32 v83, v21 offset:8768                           // 0000000083FC: D86C2240 53000015
	ds_read_b32 v86, v21 offset:10880                          // 000000008404: D86C2A80 56000015
	ds_read_b32 v87, v21 offset:10944                          // 00000000840C: D86C2AC0 57000015
	ds_read_b32 v90, v21 offset:13056                          // 000000008414: D86C3300 5A000015
	ds_read_b32 v91, v21 offset:13120                          // 00000000841C: D86C3340 5B000015
	ds_read_b32 v94, v21 offset:15232                          // 000000008424: D86C3B80 5E000015
	ds_read_b32 v95, v21 offset:15296                          // 00000000842C: D86C3BC0 5F000015
	ds_read_b32 v98, v21 offset:17408                          // 000000008434: D86C4400 62000015
	ds_read_b32 v99, v21 offset:17472                          // 00000000843C: D86C4440 63000015
	ds_read_b32 v102, v21 offset:19584                         // 000000008444: D86C4C80 66000015
	ds_read_b32 v103, v21 offset:19648                         // 00000000844C: D86C4CC0 67000015
	s_waitcnt lgkmcnt(0)                                       // 000000008454: BF8CC07F
	v_mov_b32_e32 v7, 0                                        // 000000008458: 7E0E0280
	s_mov_b64 exec, s[36:37]                                   // 00000000845C: BEFE0124
	v_mov_b32_e32 v6, v50                                      // 000000008460: 7E0C0332
	s_mov_b64 s[60:61], 0                                      // 000000008464: BEBC0180
	v_readlane_b32 s82, v3, 0                                  // 000000008468: D2890052 00010103
	s_and_b32 s82, s82, 0xffffff                               // 000000008470: 8652FF52 00FFFFFF
	s_cmp_lt_u32 s82, s66                                      // 000000008478: BF0A4252
	s_cselect_b32 s20, s36, s60                                // 00000000847C: 85143C24
	v_readlane_b32 s82, v3, 1                                  // 000000008480: D2890052 00010303
	s_and_b32 s82, s82, 0xffffff                               // 000000008488: 8652FF52 00FFFFFF
	s_cmp_lt_u32 s82, s66                                      // 000000008490: BF0A4252
	s_cselect_b32 s21, s36, s60                                // 000000008494: 85153C24
	s_mov_b64 exec, s[20:21]                                   // 000000008498: BEFE0114
	global_atomic_add_f32 v6, v66, s[8:9] offset:8             // 00000000849C: DD348008 00084206
	global_atomic_add_f32 v6, v70, s[8:9] offset:264           // 0000000084A4: DD348108 00084606
	s_mov_b64 exec, s[36:37]                                   // 0000000084AC: BEFE0124
	v_mov_b32_e32 v6, v51                                      // 0000000084B0: 7E0C0333
	s_mov_b64 s[60:61], 0                                      // 0000000084B4: BEBC0180
	v_readlane_b32 s82, v3, 2                                  // 0000000084B8: D2890052 00010503
	s_and_b32 s82, s82, 0xffffff                               // 0000000084C0: 8652FF52 00FFFFFF
	s_cmp_lt_u32 s82, s66                                      // 0000000084C8: BF0A4252
	s_cselect_b32 s20, s36, s60                                // 0000000084CC: 85143C24
	v_readlane_b32 s82, v3, 3                                  // 0000000084D0: D2890052 00010703
	s_and_b32 s82, s82, 0xffffff                               // 0000000084D8: 8652FF52 00FFFFFF
	s_cmp_lt_u32 s82, s66                                      // 0000000084E0: BF0A4252
	s_cselect_b32 s21, s36, s60                                // 0000000084E4: 85153C24
	s_mov_b64 exec, s[20:21]                                   // 0000000084E8: BEFE0114
	global_atomic_add_f32 v6, v67, s[8:9] offset:8             // 0000000084EC: DD348008 00084306
	global_atomic_add_f32 v6, v71, s[8:9] offset:264           // 0000000084F4: DD348108 00084706
	s_mov_b64 exec, s[36:37]                                   // 0000000084FC: BEFE0124
	v_mov_b32_e32 v6, v52                                      // 000000008500: 7E0C0334
	s_mov_b64 s[60:61], 0                                      // 000000008504: BEBC0180
	v_readlane_b32 s82, v3, 4                                  // 000000008508: D2890052 00010903
	s_and_b32 s82, s82, 0xffffff                               // 000000008510: 8652FF52 00FFFFFF
	s_cmp_lt_u32 s82, s66                                      // 000000008518: BF0A4252
	s_cselect_b32 s20, s36, s60                                // 00000000851C: 85143C24
	v_readlane_b32 s82, v3, 5                                  // 000000008520: D2890052 00010B03
	s_and_b32 s82, s82, 0xffffff                               // 000000008528: 8652FF52 00FFFFFF
	s_cmp_lt_u32 s82, s66                                      // 000000008530: BF0A4252
	s_cselect_b32 s21, s36, s60                                // 000000008534: 85153C24
	s_mov_b64 exec, s[20:21]                                   // 000000008538: BEFE0114
	global_atomic_add_f32 v6, v74, s[8:9] offset:8             // 00000000853C: DD348008 00084A06
	global_atomic_add_f32 v6, v78, s[8:9] offset:264           // 000000008544: DD348108 00084E06
	s_mov_b64 exec, s[36:37]                                   // 00000000854C: BEFE0124
	v_mov_b32_e32 v6, v53                                      // 000000008550: 7E0C0335
	s_mov_b64 s[60:61], 0                                      // 000000008554: BEBC0180
	v_readlane_b32 s82, v3, 6                                  // 000000008558: D2890052 00010D03
	s_and_b32 s82, s82, 0xffffff                               // 000000008560: 8652FF52 00FFFFFF
	s_cmp_lt_u32 s82, s66                                      // 000000008568: BF0A4252
	s_cselect_b32 s20, s36, s60                                // 00000000856C: 85143C24
	v_readlane_b32 s82, v3, 7                                  // 000000008570: D2890052 00010F03
	s_and_b32 s82, s82, 0xffffff                               // 000000008578: 8652FF52 00FFFFFF
	s_cmp_lt_u32 s82, s66                                      // 000000008580: BF0A4252
	s_cselect_b32 s21, s36, s60                                // 000000008584: 85153C24
	s_mov_b64 exec, s[20:21]                                   // 000000008588: BEFE0114
	global_atomic_add_f32 v6, v75, s[8:9] offset:8             // 00000000858C: DD348008 00084B06
	global_atomic_add_f32 v6, v79, s[8:9] offset:264           // 000000008594: DD348108 00084F06
	s_mov_b64 exec, s[36:37]                                   // 00000000859C: BEFE0124
	v_mov_b32_e32 v6, v54                                      // 0000000085A0: 7E0C0336
	s_mov_b64 s[60:61], 0                                      // 0000000085A4: BEBC0180
	v_readlane_b32 s82, v3, 8                                  // 0000000085A8: D2890052 00011103
	s_and_b32 s82, s82, 0xffffff                               // 0000000085B0: 8652FF52 00FFFFFF
	s_cmp_lt_u32 s82, s66                                      // 0000000085B8: BF0A4252
	s_cselect_b32 s20, s36, s60                                // 0000000085BC: 85143C24
	v_readlane_b32 s82, v3, 9                                  // 0000000085C0: D2890052 00011303
	s_and_b32 s82, s82, 0xffffff                               // 0000000085C8: 8652FF52 00FFFFFF
	s_cmp_lt_u32 s82, s66                                      // 0000000085D0: BF0A4252
	s_cselect_b32 s21, s36, s60                                // 0000000085D4: 85153C24
	s_mov_b64 exec, s[20:21]                                   // 0000000085D8: BEFE0114
	global_atomic_add_f32 v6, v82, s[8:9] offset:8             // 0000000085DC: DD348008 00085206
	global_atomic_add_f32 v6, v86, s[8:9] offset:264           // 0000000085E4: DD348108 00085606
	s_mov_b64 exec, s[36:37]                                   // 0000000085EC: BEFE0124
	v_mov_b32_e32 v6, v55                                      // 0000000085F0: 7E0C0337
	s_mov_b64 s[60:61], 0                                      // 0000000085F4: BEBC0180
	v_readlane_b32 s82, v3, 10                                 // 0000000085F8: D2890052 00011503
	s_and_b32 s82, s82, 0xffffff                               // 000000008600: 8652FF52 00FFFFFF
	s_cmp_lt_u32 s82, s66                                      // 000000008608: BF0A4252
	s_cselect_b32 s20, s36, s60                                // 00000000860C: 85143C24
	v_readlane_b32 s82, v3, 11                                 // 000000008610: D2890052 00011703
	s_and_b32 s82, s82, 0xffffff                               // 000000008618: 8652FF52 00FFFFFF
	s_cmp_lt_u32 s82, s66                                      // 000000008620: BF0A4252
	s_cselect_b32 s21, s36, s60                                // 000000008624: 85153C24
	s_mov_b64 exec, s[20:21]                                   // 000000008628: BEFE0114
	global_atomic_add_f32 v6, v83, s[8:9] offset:8             // 00000000862C: DD348008 00085306
	global_atomic_add_f32 v6, v87, s[8:9] offset:264           // 000000008634: DD348108 00085706
	s_mov_b64 exec, s[36:37]                                   // 00000000863C: BEFE0124
	v_mov_b32_e32 v6, v56                                      // 000000008640: 7E0C0338
	s_mov_b64 s[60:61], 0                                      // 000000008644: BEBC0180
	v_readlane_b32 s82, v3, 12                                 // 000000008648: D2890052 00011903
	s_and_b32 s82, s82, 0xffffff                               // 000000008650: 8652FF52 00FFFFFF
	s_cmp_lt_u32 s82, s66                                      // 000000008658: BF0A4252
	s_cselect_b32 s20, s36, s60                                // 00000000865C: 85143C24
	v_readlane_b32 s82, v3, 13                                 // 000000008660: D2890052 00011B03
	s_and_b32 s82, s82, 0xffffff                               // 000000008668: 8652FF52 00FFFFFF
	s_cmp_lt_u32 s82, s66                                      // 000000008670: BF0A4252
	s_cselect_b32 s21, s36, s60                                // 000000008674: 85153C24
	s_mov_b64 exec, s[20:21]                                   // 000000008678: BEFE0114
	global_atomic_add_f32 v6, v90, s[8:9] offset:8             // 00000000867C: DD348008 00085A06
	global_atomic_add_f32 v6, v94, s[8:9] offset:264           // 000000008684: DD348108 00085E06
	s_mov_b64 exec, s[36:37]                                   // 00000000868C: BEFE0124
	v_mov_b32_e32 v6, v57                                      // 000000008690: 7E0C0339
	s_mov_b64 s[60:61], 0                                      // 000000008694: BEBC0180
	v_readlane_b32 s82, v3, 14                                 // 000000008698: D2890052 00011D03
	s_and_b32 s82, s82, 0xffffff                               // 0000000086A0: 8652FF52 00FFFFFF
	s_cmp_lt_u32 s82, s66                                      // 0000000086A8: BF0A4252
	s_cselect_b32 s20, s36, s60                                // 0000000086AC: 85143C24
	v_readlane_b32 s82, v3, 15                                 // 0000000086B0: D2890052 00011F03
	s_and_b32 s82, s82, 0xffffff                               // 0000000086B8: 8652FF52 00FFFFFF
	s_cmp_lt_u32 s82, s66                                      // 0000000086C0: BF0A4252
	s_cselect_b32 s21, s36, s60                                // 0000000086C4: 85153C24
	s_mov_b64 exec, s[20:21]                                   // 0000000086C8: BEFE0114
	global_atomic_add_f32 v6, v91, s[8:9] offset:8             // 0000000086CC: DD348008 00085B06
	global_atomic_add_f32 v6, v95, s[8:9] offset:264           // 0000000086D4: DD348108 00085F06
	s_mov_b64 exec, s[36:37]                                   // 0000000086DC: BEFE0124
	v_mov_b32_e32 v6, v58                                      // 0000000086E0: 7E0C033A
	s_mov_b64 s[60:61], 0                                      // 0000000086E4: BEBC0180
	v_readlane_b32 s82, v3, 16                                 // 0000000086E8: D2890052 00012103
	s_and_b32 s82, s82, 0xffffff                               // 0000000086F0: 8652FF52 00FFFFFF
	s_cmp_lt_u32 s82, s66                                      // 0000000086F8: BF0A4252
	s_cselect_b32 s20, s36, s60                                // 0000000086FC: 85143C24
	v_readlane_b32 s82, v3, 17                                 // 000000008700: D2890052 00012303
	s_and_b32 s82, s82, 0xffffff                               // 000000008708: 8652FF52 00FFFFFF
	s_cmp_lt_u32 s82, s66                                      // 000000008710: BF0A4252
	s_cselect_b32 s21, s36, s60                                // 000000008714: 85153C24
	s_mov_b64 exec, s[20:21]                                   // 000000008718: BEFE0114
	global_atomic_add_f32 v6, v98, s[8:9] offset:8             // 00000000871C: DD348008 00086206
	global_atomic_add_f32 v6, v102, s[8:9] offset:264          // 000000008724: DD348108 00086606
	s_mov_b64 exec, s[36:37]                                   // 00000000872C: BEFE0124
	v_mov_b32_e32 v6, v59                                      // 000000008730: 7E0C033B
	s_mov_b64 s[60:61], 0                                      // 000000008734: BEBC0180
	v_readlane_b32 s82, v3, 18                                 // 000000008738: D2890052 00012503
	s_and_b32 s82, s82, 0xffffff                               // 000000008740: 8652FF52 00FFFFFF
	s_cmp_lt_u32 s82, s66                                      // 000000008748: BF0A4252
	s_cselect_b32 s20, s36, s60                                // 00000000874C: 85143C24
	v_readlane_b32 s82, v3, 19                                 // 000000008750: D2890052 00012703
	s_and_b32 s82, s82, 0xffffff                               // 000000008758: 8652FF52 00FFFFFF
	s_cmp_lt_u32 s82, s66                                      // 000000008760: BF0A4252
	s_cselect_b32 s21, s36, s60                                // 000000008764: 85153C24
	s_mov_b64 exec, s[20:21]                                   // 000000008768: BEFE0114
	global_atomic_add_f32 v6, v99, s[8:9] offset:8             // 00000000876C: DD348008 00086306
	global_atomic_add_f32 v6, v103, s[8:9] offset:264          // 000000008774: DD348108 00086706
	s_mov_b64 exec, s[36:37]                                   // 00000000877C: BEFE0124
	ds_write_b64 v20, v[104:105]                               // 000000008780: D89A0000 00006814
	ds_write_b64 v20, v[108:109] offset:4352                   // 000000008788: D89A1100 00006C14
	ds_write_b64 v20, v[112:113] offset:8704                   // 000000008790: D89A2200 00007014
	ds_write_b64 v20, v[116:117] offset:13056                  // 000000008798: D89A3300 00007414
	ds_write_b64 v20, v[120:121] offset:17408                  // 0000000087A0: D89A4400 00007814
	ds_write_b64 v20, v[124:125] offset:2176                   // 0000000087A8: D89A0880 00007C14
	ds_write_b64 v20, v[128:129] offset:6528                   // 0000000087B0: D89A1980 00008014
	ds_write_b64 v20, v[132:133] offset:10880                  // 0000000087B8: D89A2A80 00008414
	ds_write_b64 v20, v[136:137] offset:15232                  // 0000000087C0: D89A3B80 00008814
	ds_write_b64 v20, v[140:141] offset:19584                  // 0000000087C8: D89A4C80 00008C14
	s_waitcnt lgkmcnt(0)                                       // 0000000087D0: BF8CC07F
	s_barrier                                                  // 0000000087D4: BF8A0000
	ds_read_b32 v104, v21                                      // 0000000087D8: D86C0000 68000015
	ds_read_b32 v105, v21 offset:64                            // 0000000087E0: D86C0040 69000015
	ds_read_b32 v108, v21 offset:2176                          // 0000000087E8: D86C0880 6C000015
	ds_read_b32 v109, v21 offset:2240                          // 0000000087F0: D86C08C0 6D000015
	ds_read_b32 v112, v21 offset:4352                          // 0000000087F8: D86C1100 70000015
	ds_read_b32 v113, v21 offset:4416                          // 000000008800: D86C1140 71000015
	ds_read_b32 v116, v21 offset:6528                          // 000000008808: D86C1980 74000015
	ds_read_b32 v117, v21 offset:6592                          // 000000008810: D86C19C0 75000015
	ds_read_b32 v120, v21 offset:8704                          // 000000008818: D86C2200 78000015
	ds_read_b32 v121, v21 offset:8768                          // 000000008820: D86C2240 79000015
	ds_read_b32 v124, v21 offset:10880                         // 000000008828: D86C2A80 7C000015
	ds_read_b32 v125, v21 offset:10944                         // 000000008830: D86C2AC0 7D000015
	ds_read_b32 v128, v21 offset:13056                         // 000000008838: D86C3300 80000015
	ds_read_b32 v129, v21 offset:13120                         // 000000008840: D86C3340 81000015
	ds_read_b32 v132, v21 offset:15232                         // 000000008848: D86C3B80 84000015
	ds_read_b32 v133, v21 offset:15296                         // 000000008850: D86C3BC0 85000015
	ds_read_b32 v136, v21 offset:17408                         // 000000008858: D86C4400 88000015
	ds_read_b32 v137, v21 offset:17472                         // 000000008860: D86C4440 89000015
	ds_read_b32 v140, v21 offset:19584                         // 000000008868: D86C4C80 8C000015
	ds_read_b32 v141, v21 offset:19648                         // 000000008870: D86C4CC0 8D000015
	s_mul_i32 s60, s65, 4                                      // 000000008878: 923C8441
	s_add_u32 s8, s60, s8                                      // 00000000887C: 8008083C
	s_addc_u32 s9, 0, s9                                       // 000000008880: 82090980
	s_waitcnt lgkmcnt(0)                                       // 000000008884: BF8CC07F
	v_mov_b32_e32 v7, 0                                        // 000000008888: 7E0E0280
	s_mov_b64 exec, s[36:37]                                   // 00000000888C: BEFE0124
	v_mov_b32_e32 v6, v50                                      // 000000008890: 7E0C0332
	s_mov_b64 s[60:61], 0                                      // 000000008894: BEBC0180
	v_readlane_b32 s82, v3, 0                                  // 000000008898: D2890052 00010103
	s_and_b32 s82, s82, 0xffffff                               // 0000000088A0: 8652FF52 00FFFFFF
	s_cmp_lt_u32 s82, s66                                      // 0000000088A8: BF0A4252
	s_cselect_b32 s20, s36, s60                                // 0000000088AC: 85143C24
	v_readlane_b32 s82, v3, 1                                  // 0000000088B0: D2890052 00010303
	s_and_b32 s82, s82, 0xffffff                               // 0000000088B8: 8652FF52 00FFFFFF
	s_cmp_lt_u32 s82, s66                                      // 0000000088C0: BF0A4252
	s_cselect_b32 s21, s36, s60                                // 0000000088C4: 85153C24
	s_mov_b64 exec, s[20:21]                                   // 0000000088C8: BEFE0114
	global_atomic_add_f32 v6, v104, s[8:9]                     // 0000000088CC: DD348000 00086806
	global_atomic_add_f32 v6, v108, s[8:9] offset:256          // 0000000088D4: DD348100 00086C06
	s_mov_b64 exec, s[36:37]                                   // 0000000088DC: BEFE0124
	v_mov_b32_e32 v6, v51                                      // 0000000088E0: 7E0C0333
	s_mov_b64 s[60:61], 0                                      // 0000000088E4: BEBC0180
	v_readlane_b32 s82, v3, 2                                  // 0000000088E8: D2890052 00010503
	s_and_b32 s82, s82, 0xffffff                               // 0000000088F0: 8652FF52 00FFFFFF
	s_cmp_lt_u32 s82, s66                                      // 0000000088F8: BF0A4252
	s_cselect_b32 s20, s36, s60                                // 0000000088FC: 85143C24
	v_readlane_b32 s82, v3, 3                                  // 000000008900: D2890052 00010703
	s_and_b32 s82, s82, 0xffffff                               // 000000008908: 8652FF52 00FFFFFF
	s_cmp_lt_u32 s82, s66                                      // 000000008910: BF0A4252
	s_cselect_b32 s21, s36, s60                                // 000000008914: 85153C24
	s_mov_b64 exec, s[20:21]                                   // 000000008918: BEFE0114
	global_atomic_add_f32 v6, v105, s[8:9]                     // 00000000891C: DD348000 00086906
	global_atomic_add_f32 v6, v109, s[8:9] offset:256          // 000000008924: DD348100 00086D06
	s_mov_b64 exec, s[36:37]                                   // 00000000892C: BEFE0124
	v_mov_b32_e32 v6, v52                                      // 000000008930: 7E0C0334
	s_mov_b64 s[60:61], 0                                      // 000000008934: BEBC0180
	v_readlane_b32 s82, v3, 4                                  // 000000008938: D2890052 00010903
	s_and_b32 s82, s82, 0xffffff                               // 000000008940: 8652FF52 00FFFFFF
	s_cmp_lt_u32 s82, s66                                      // 000000008948: BF0A4252
	s_cselect_b32 s20, s36, s60                                // 00000000894C: 85143C24
	v_readlane_b32 s82, v3, 5                                  // 000000008950: D2890052 00010B03
	s_and_b32 s82, s82, 0xffffff                               // 000000008958: 8652FF52 00FFFFFF
	s_cmp_lt_u32 s82, s66                                      // 000000008960: BF0A4252
	s_cselect_b32 s21, s36, s60                                // 000000008964: 85153C24
	s_mov_b64 exec, s[20:21]                                   // 000000008968: BEFE0114
	global_atomic_add_f32 v6, v112, s[8:9]                     // 00000000896C: DD348000 00087006
	global_atomic_add_f32 v6, v116, s[8:9] offset:256          // 000000008974: DD348100 00087406
	s_mov_b64 exec, s[36:37]                                   // 00000000897C: BEFE0124
	v_mov_b32_e32 v6, v53                                      // 000000008980: 7E0C0335
	s_mov_b64 s[60:61], 0                                      // 000000008984: BEBC0180
	v_readlane_b32 s82, v3, 6                                  // 000000008988: D2890052 00010D03
	s_and_b32 s82, s82, 0xffffff                               // 000000008990: 8652FF52 00FFFFFF
	s_cmp_lt_u32 s82, s66                                      // 000000008998: BF0A4252
	s_cselect_b32 s20, s36, s60                                // 00000000899C: 85143C24
	v_readlane_b32 s82, v3, 7                                  // 0000000089A0: D2890052 00010F03
	s_and_b32 s82, s82, 0xffffff                               // 0000000089A8: 8652FF52 00FFFFFF
	s_cmp_lt_u32 s82, s66                                      // 0000000089B0: BF0A4252
	s_cselect_b32 s21, s36, s60                                // 0000000089B4: 85153C24
	s_mov_b64 exec, s[20:21]                                   // 0000000089B8: BEFE0114
	global_atomic_add_f32 v6, v113, s[8:9]                     // 0000000089BC: DD348000 00087106
	global_atomic_add_f32 v6, v117, s[8:9] offset:256          // 0000000089C4: DD348100 00087506
	s_mov_b64 exec, s[36:37]                                   // 0000000089CC: BEFE0124
	v_mov_b32_e32 v6, v54                                      // 0000000089D0: 7E0C0336
	s_mov_b64 s[60:61], 0                                      // 0000000089D4: BEBC0180
	v_readlane_b32 s82, v3, 8                                  // 0000000089D8: D2890052 00011103
	s_and_b32 s82, s82, 0xffffff                               // 0000000089E0: 8652FF52 00FFFFFF
	s_cmp_lt_u32 s82, s66                                      // 0000000089E8: BF0A4252
	s_cselect_b32 s20, s36, s60                                // 0000000089EC: 85143C24
	v_readlane_b32 s82, v3, 9                                  // 0000000089F0: D2890052 00011303
	s_and_b32 s82, s82, 0xffffff                               // 0000000089F8: 8652FF52 00FFFFFF
	s_cmp_lt_u32 s82, s66                                      // 000000008A00: BF0A4252
	s_cselect_b32 s21, s36, s60                                // 000000008A04: 85153C24
	s_mov_b64 exec, s[20:21]                                   // 000000008A08: BEFE0114
	global_atomic_add_f32 v6, v120, s[8:9]                     // 000000008A0C: DD348000 00087806
	global_atomic_add_f32 v6, v124, s[8:9] offset:256          // 000000008A14: DD348100 00087C06
	s_mov_b64 exec, s[36:37]                                   // 000000008A1C: BEFE0124
	v_mov_b32_e32 v6, v55                                      // 000000008A20: 7E0C0337
	s_mov_b64 s[60:61], 0                                      // 000000008A24: BEBC0180
	v_readlane_b32 s82, v3, 10                                 // 000000008A28: D2890052 00011503
	s_and_b32 s82, s82, 0xffffff                               // 000000008A30: 8652FF52 00FFFFFF
	s_cmp_lt_u32 s82, s66                                      // 000000008A38: BF0A4252
	s_cselect_b32 s20, s36, s60                                // 000000008A3C: 85143C24
	v_readlane_b32 s82, v3, 11                                 // 000000008A40: D2890052 00011703
	s_and_b32 s82, s82, 0xffffff                               // 000000008A48: 8652FF52 00FFFFFF
	s_cmp_lt_u32 s82, s66                                      // 000000008A50: BF0A4252
	s_cselect_b32 s21, s36, s60                                // 000000008A54: 85153C24
	s_mov_b64 exec, s[20:21]                                   // 000000008A58: BEFE0114
	global_atomic_add_f32 v6, v121, s[8:9]                     // 000000008A5C: DD348000 00087906
	global_atomic_add_f32 v6, v125, s[8:9] offset:256          // 000000008A64: DD348100 00087D06
	s_mov_b64 exec, s[36:37]                                   // 000000008A6C: BEFE0124
	v_mov_b32_e32 v6, v56                                      // 000000008A70: 7E0C0338
	s_mov_b64 s[60:61], 0                                      // 000000008A74: BEBC0180
	v_readlane_b32 s82, v3, 12                                 // 000000008A78: D2890052 00011903
	s_and_b32 s82, s82, 0xffffff                               // 000000008A80: 8652FF52 00FFFFFF
	s_cmp_lt_u32 s82, s66                                      // 000000008A88: BF0A4252
	s_cselect_b32 s20, s36, s60                                // 000000008A8C: 85143C24
	v_readlane_b32 s82, v3, 13                                 // 000000008A90: D2890052 00011B03
	s_and_b32 s82, s82, 0xffffff                               // 000000008A98: 8652FF52 00FFFFFF
	s_cmp_lt_u32 s82, s66                                      // 000000008AA0: BF0A4252
	s_cselect_b32 s21, s36, s60                                // 000000008AA4: 85153C24
	s_mov_b64 exec, s[20:21]                                   // 000000008AA8: BEFE0114
	global_atomic_add_f32 v6, v128, s[8:9]                     // 000000008AAC: DD348000 00088006
	global_atomic_add_f32 v6, v132, s[8:9] offset:256          // 000000008AB4: DD348100 00088406
	s_mov_b64 exec, s[36:37]                                   // 000000008ABC: BEFE0124
	v_mov_b32_e32 v6, v57                                      // 000000008AC0: 7E0C0339
	s_mov_b64 s[60:61], 0                                      // 000000008AC4: BEBC0180
	v_readlane_b32 s82, v3, 14                                 // 000000008AC8: D2890052 00011D03
	s_and_b32 s82, s82, 0xffffff                               // 000000008AD0: 8652FF52 00FFFFFF
	s_cmp_lt_u32 s82, s66                                      // 000000008AD8: BF0A4252
	s_cselect_b32 s20, s36, s60                                // 000000008ADC: 85143C24
	v_readlane_b32 s82, v3, 15                                 // 000000008AE0: D2890052 00011F03
	s_and_b32 s82, s82, 0xffffff                               // 000000008AE8: 8652FF52 00FFFFFF
	s_cmp_lt_u32 s82, s66                                      // 000000008AF0: BF0A4252
	s_cselect_b32 s21, s36, s60                                // 000000008AF4: 85153C24
	s_mov_b64 exec, s[20:21]                                   // 000000008AF8: BEFE0114
	global_atomic_add_f32 v6, v129, s[8:9]                     // 000000008AFC: DD348000 00088106
	global_atomic_add_f32 v6, v133, s[8:9] offset:256          // 000000008B04: DD348100 00088506
	s_mov_b64 exec, s[36:37]                                   // 000000008B0C: BEFE0124
	v_mov_b32_e32 v6, v58                                      // 000000008B10: 7E0C033A
	s_mov_b64 s[60:61], 0                                      // 000000008B14: BEBC0180
	v_readlane_b32 s82, v3, 16                                 // 000000008B18: D2890052 00012103
	s_and_b32 s82, s82, 0xffffff                               // 000000008B20: 8652FF52 00FFFFFF
	s_cmp_lt_u32 s82, s66                                      // 000000008B28: BF0A4252
	s_cselect_b32 s20, s36, s60                                // 000000008B2C: 85143C24
	v_readlane_b32 s82, v3, 17                                 // 000000008B30: D2890052 00012303
	s_and_b32 s82, s82, 0xffffff                               // 000000008B38: 8652FF52 00FFFFFF
	s_cmp_lt_u32 s82, s66                                      // 000000008B40: BF0A4252
	s_cselect_b32 s21, s36, s60                                // 000000008B44: 85153C24
	s_mov_b64 exec, s[20:21]                                   // 000000008B48: BEFE0114
	global_atomic_add_f32 v6, v136, s[8:9]                     // 000000008B4C: DD348000 00088806
	global_atomic_add_f32 v6, v140, s[8:9] offset:256          // 000000008B54: DD348100 00088C06
	s_mov_b64 exec, s[36:37]                                   // 000000008B5C: BEFE0124
	v_mov_b32_e32 v6, v59                                      // 000000008B60: 7E0C033B
	s_mov_b64 s[60:61], 0                                      // 000000008B64: BEBC0180
	v_readlane_b32 s82, v3, 18                                 // 000000008B68: D2890052 00012503
	s_and_b32 s82, s82, 0xffffff                               // 000000008B70: 8652FF52 00FFFFFF
	s_cmp_lt_u32 s82, s66                                      // 000000008B78: BF0A4252
	s_cselect_b32 s20, s36, s60                                // 000000008B7C: 85143C24
	v_readlane_b32 s82, v3, 19                                 // 000000008B80: D2890052 00012703
	s_and_b32 s82, s82, 0xffffff                               // 000000008B88: 8652FF52 00FFFFFF
	s_cmp_lt_u32 s82, s66                                      // 000000008B90: BF0A4252
	s_cselect_b32 s21, s36, s60                                // 000000008B94: 85153C24
	s_mov_b64 exec, s[20:21]                                   // 000000008B98: BEFE0114
	global_atomic_add_f32 v6, v137, s[8:9]                     // 000000008B9C: DD348000 00088906
	global_atomic_add_f32 v6, v141, s[8:9] offset:256          // 000000008BA4: DD348100 00088D06
	s_mov_b64 exec, s[36:37]                                   // 000000008BAC: BEFE0124
	ds_write_b64 v20, v[106:107]                               // 000000008BB0: D89A0000 00006A14
	ds_write_b64 v20, v[110:111] offset:4352                   // 000000008BB8: D89A1100 00006E14
	ds_write_b64 v20, v[114:115] offset:8704                   // 000000008BC0: D89A2200 00007214
	ds_write_b64 v20, v[118:119] offset:13056                  // 000000008BC8: D89A3300 00007614
	ds_write_b64 v20, v[122:123] offset:17408                  // 000000008BD0: D89A4400 00007A14
	ds_write_b64 v20, v[126:127] offset:2176                   // 000000008BD8: D89A0880 00007E14
	ds_write_b64 v20, v[130:131] offset:6528                   // 000000008BE0: D89A1980 00008214
	ds_write_b64 v20, v[134:135] offset:10880                  // 000000008BE8: D89A2A80 00008614
	ds_write_b64 v20, v[138:139] offset:15232                  // 000000008BF0: D89A3B80 00008A14
	ds_write_b64 v20, v[142:143] offset:19584                  // 000000008BF8: D89A4C80 00008E14
	s_waitcnt lgkmcnt(0)                                       // 000000008C00: BF8CC07F
	s_barrier                                                  // 000000008C04: BF8A0000
	ds_read_b32 v106, v21                                      // 000000008C08: D86C0000 6A000015
	ds_read_b32 v107, v21 offset:64                            // 000000008C10: D86C0040 6B000015
	ds_read_b32 v110, v21 offset:2176                          // 000000008C18: D86C0880 6E000015
	ds_read_b32 v111, v21 offset:2240                          // 000000008C20: D86C08C0 6F000015
	ds_read_b32 v114, v21 offset:4352                          // 000000008C28: D86C1100 72000015
	ds_read_b32 v115, v21 offset:4416                          // 000000008C30: D86C1140 73000015
	ds_read_b32 v118, v21 offset:6528                          // 000000008C38: D86C1980 76000015
	ds_read_b32 v119, v21 offset:6592                          // 000000008C40: D86C19C0 77000015
	ds_read_b32 v122, v21 offset:8704                          // 000000008C48: D86C2200 7A000015
	ds_read_b32 v123, v21 offset:8768                          // 000000008C50: D86C2240 7B000015
	ds_read_b32 v126, v21 offset:10880                         // 000000008C58: D86C2A80 7E000015
	ds_read_b32 v127, v21 offset:10944                         // 000000008C60: D86C2AC0 7F000015
	ds_read_b32 v130, v21 offset:13056                         // 000000008C68: D86C3300 82000015
	ds_read_b32 v131, v21 offset:13120                         // 000000008C70: D86C3340 83000015
	ds_read_b32 v134, v21 offset:15232                         // 000000008C78: D86C3B80 86000015
	ds_read_b32 v135, v21 offset:15296                         // 000000008C80: D86C3BC0 87000015
	ds_read_b32 v138, v21 offset:17408                         // 000000008C88: D86C4400 8A000015
	ds_read_b32 v139, v21 offset:17472                         // 000000008C90: D86C4440 8B000015
	ds_read_b32 v142, v21 offset:19584                         // 000000008C98: D86C4C80 8E000015
	ds_read_b32 v143, v21 offset:19648                         // 000000008CA0: D86C4CC0 8F000015
	s_waitcnt lgkmcnt(0)                                       // 000000008CA8: BF8CC07F
	v_mov_b32_e32 v7, 0                                        // 000000008CAC: 7E0E0280
	s_mov_b64 exec, s[36:37]                                   // 000000008CB0: BEFE0124
	v_mov_b32_e32 v6, v50                                      // 000000008CB4: 7E0C0332
	s_mov_b64 s[60:61], 0                                      // 000000008CB8: BEBC0180
	v_readlane_b32 s82, v3, 0                                  // 000000008CBC: D2890052 00010103
	s_and_b32 s82, s82, 0xffffff                               // 000000008CC4: 8652FF52 00FFFFFF
	s_cmp_lt_u32 s82, s66                                      // 000000008CCC: BF0A4252
	s_cselect_b32 s20, s36, s60                                // 000000008CD0: 85143C24
	v_readlane_b32 s82, v3, 1                                  // 000000008CD4: D2890052 00010303
	s_and_b32 s82, s82, 0xffffff                               // 000000008CDC: 8652FF52 00FFFFFF
	s_cmp_lt_u32 s82, s66                                      // 000000008CE4: BF0A4252
	s_cselect_b32 s21, s36, s60                                // 000000008CE8: 85153C24
	s_mov_b64 exec, s[20:21]                                   // 000000008CEC: BEFE0114
	global_atomic_add_f32 v6, v106, s[8:9] offset:8            // 000000008CF0: DD348008 00086A06
	global_atomic_add_f32 v6, v110, s[8:9] offset:264          // 000000008CF8: DD348108 00086E06
	s_mov_b64 exec, s[36:37]                                   // 000000008D00: BEFE0124
	v_mov_b32_e32 v6, v51                                      // 000000008D04: 7E0C0333
	s_mov_b64 s[60:61], 0                                      // 000000008D08: BEBC0180
	v_readlane_b32 s82, v3, 2                                  // 000000008D0C: D2890052 00010503
	s_and_b32 s82, s82, 0xffffff                               // 000000008D14: 8652FF52 00FFFFFF
	s_cmp_lt_u32 s82, s66                                      // 000000008D1C: BF0A4252
	s_cselect_b32 s20, s36, s60                                // 000000008D20: 85143C24
	v_readlane_b32 s82, v3, 3                                  // 000000008D24: D2890052 00010703
	s_and_b32 s82, s82, 0xffffff                               // 000000008D2C: 8652FF52 00FFFFFF
	s_cmp_lt_u32 s82, s66                                      // 000000008D34: BF0A4252
	s_cselect_b32 s21, s36, s60                                // 000000008D38: 85153C24
	s_mov_b64 exec, s[20:21]                                   // 000000008D3C: BEFE0114
	global_atomic_add_f32 v6, v107, s[8:9] offset:8            // 000000008D40: DD348008 00086B06
	global_atomic_add_f32 v6, v111, s[8:9] offset:264          // 000000008D48: DD348108 00086F06
	s_mov_b64 exec, s[36:37]                                   // 000000008D50: BEFE0124
	v_mov_b32_e32 v6, v52                                      // 000000008D54: 7E0C0334
	s_mov_b64 s[60:61], 0                                      // 000000008D58: BEBC0180
	v_readlane_b32 s82, v3, 4                                  // 000000008D5C: D2890052 00010903
	s_and_b32 s82, s82, 0xffffff                               // 000000008D64: 8652FF52 00FFFFFF
	s_cmp_lt_u32 s82, s66                                      // 000000008D6C: BF0A4252
	s_cselect_b32 s20, s36, s60                                // 000000008D70: 85143C24
	v_readlane_b32 s82, v3, 5                                  // 000000008D74: D2890052 00010B03
	s_and_b32 s82, s82, 0xffffff                               // 000000008D7C: 8652FF52 00FFFFFF
	s_cmp_lt_u32 s82, s66                                      // 000000008D84: BF0A4252
	s_cselect_b32 s21, s36, s60                                // 000000008D88: 85153C24
	s_mov_b64 exec, s[20:21]                                   // 000000008D8C: BEFE0114
	global_atomic_add_f32 v6, v114, s[8:9] offset:8            // 000000008D90: DD348008 00087206
	global_atomic_add_f32 v6, v118, s[8:9] offset:264          // 000000008D98: DD348108 00087606
	s_mov_b64 exec, s[36:37]                                   // 000000008DA0: BEFE0124
	v_mov_b32_e32 v6, v53                                      // 000000008DA4: 7E0C0335
	s_mov_b64 s[60:61], 0                                      // 000000008DA8: BEBC0180
	v_readlane_b32 s82, v3, 6                                  // 000000008DAC: D2890052 00010D03
	s_and_b32 s82, s82, 0xffffff                               // 000000008DB4: 8652FF52 00FFFFFF
	s_cmp_lt_u32 s82, s66                                      // 000000008DBC: BF0A4252
	s_cselect_b32 s20, s36, s60                                // 000000008DC0: 85143C24
	v_readlane_b32 s82, v3, 7                                  // 000000008DC4: D2890052 00010F03
	s_and_b32 s82, s82, 0xffffff                               // 000000008DCC: 8652FF52 00FFFFFF
	s_cmp_lt_u32 s82, s66                                      // 000000008DD4: BF0A4252
	s_cselect_b32 s21, s36, s60                                // 000000008DD8: 85153C24
	s_mov_b64 exec, s[20:21]                                   // 000000008DDC: BEFE0114
	global_atomic_add_f32 v6, v115, s[8:9] offset:8            // 000000008DE0: DD348008 00087306
	global_atomic_add_f32 v6, v119, s[8:9] offset:264          // 000000008DE8: DD348108 00087706
	s_mov_b64 exec, s[36:37]                                   // 000000008DF0: BEFE0124
	v_mov_b32_e32 v6, v54                                      // 000000008DF4: 7E0C0336
	s_mov_b64 s[60:61], 0                                      // 000000008DF8: BEBC0180
	v_readlane_b32 s82, v3, 8                                  // 000000008DFC: D2890052 00011103
	s_and_b32 s82, s82, 0xffffff                               // 000000008E04: 8652FF52 00FFFFFF
	s_cmp_lt_u32 s82, s66                                      // 000000008E0C: BF0A4252
	s_cselect_b32 s20, s36, s60                                // 000000008E10: 85143C24
	v_readlane_b32 s82, v3, 9                                  // 000000008E14: D2890052 00011303
	s_and_b32 s82, s82, 0xffffff                               // 000000008E1C: 8652FF52 00FFFFFF
	s_cmp_lt_u32 s82, s66                                      // 000000008E24: BF0A4252
	s_cselect_b32 s21, s36, s60                                // 000000008E28: 85153C24
	s_mov_b64 exec, s[20:21]                                   // 000000008E2C: BEFE0114
	global_atomic_add_f32 v6, v122, s[8:9] offset:8            // 000000008E30: DD348008 00087A06
	global_atomic_add_f32 v6, v126, s[8:9] offset:264          // 000000008E38: DD348108 00087E06
	s_mov_b64 exec, s[36:37]                                   // 000000008E40: BEFE0124
	v_mov_b32_e32 v6, v55                                      // 000000008E44: 7E0C0337
	s_mov_b64 s[60:61], 0                                      // 000000008E48: BEBC0180
	v_readlane_b32 s82, v3, 10                                 // 000000008E4C: D2890052 00011503
	s_and_b32 s82, s82, 0xffffff                               // 000000008E54: 8652FF52 00FFFFFF
	s_cmp_lt_u32 s82, s66                                      // 000000008E5C: BF0A4252
	s_cselect_b32 s20, s36, s60                                // 000000008E60: 85143C24
	v_readlane_b32 s82, v3, 11                                 // 000000008E64: D2890052 00011703
	s_and_b32 s82, s82, 0xffffff                               // 000000008E6C: 8652FF52 00FFFFFF
	s_cmp_lt_u32 s82, s66                                      // 000000008E74: BF0A4252
	s_cselect_b32 s21, s36, s60                                // 000000008E78: 85153C24
	s_mov_b64 exec, s[20:21]                                   // 000000008E7C: BEFE0114
	global_atomic_add_f32 v6, v123, s[8:9] offset:8            // 000000008E80: DD348008 00087B06
	global_atomic_add_f32 v6, v127, s[8:9] offset:264          // 000000008E88: DD348108 00087F06
	s_mov_b64 exec, s[36:37]                                   // 000000008E90: BEFE0124
	v_mov_b32_e32 v6, v56                                      // 000000008E94: 7E0C0338
	s_mov_b64 s[60:61], 0                                      // 000000008E98: BEBC0180
	v_readlane_b32 s82, v3, 12                                 // 000000008E9C: D2890052 00011903
	s_and_b32 s82, s82, 0xffffff                               // 000000008EA4: 8652FF52 00FFFFFF
	s_cmp_lt_u32 s82, s66                                      // 000000008EAC: BF0A4252
	s_cselect_b32 s20, s36, s60                                // 000000008EB0: 85143C24
	v_readlane_b32 s82, v3, 13                                 // 000000008EB4: D2890052 00011B03
	s_and_b32 s82, s82, 0xffffff                               // 000000008EBC: 8652FF52 00FFFFFF
	s_cmp_lt_u32 s82, s66                                      // 000000008EC4: BF0A4252
	s_cselect_b32 s21, s36, s60                                // 000000008EC8: 85153C24
	s_mov_b64 exec, s[20:21]                                   // 000000008ECC: BEFE0114
	global_atomic_add_f32 v6, v130, s[8:9] offset:8            // 000000008ED0: DD348008 00088206
	global_atomic_add_f32 v6, v134, s[8:9] offset:264          // 000000008ED8: DD348108 00088606
	s_mov_b64 exec, s[36:37]                                   // 000000008EE0: BEFE0124
	v_mov_b32_e32 v6, v57                                      // 000000008EE4: 7E0C0339
	s_mov_b64 s[60:61], 0                                      // 000000008EE8: BEBC0180
	v_readlane_b32 s82, v3, 14                                 // 000000008EEC: D2890052 00011D03
	s_and_b32 s82, s82, 0xffffff                               // 000000008EF4: 8652FF52 00FFFFFF
	s_cmp_lt_u32 s82, s66                                      // 000000008EFC: BF0A4252
	s_cselect_b32 s20, s36, s60                                // 000000008F00: 85143C24
	v_readlane_b32 s82, v3, 15                                 // 000000008F04: D2890052 00011F03
	s_and_b32 s82, s82, 0xffffff                               // 000000008F0C: 8652FF52 00FFFFFF
	s_cmp_lt_u32 s82, s66                                      // 000000008F14: BF0A4252
	s_cselect_b32 s21, s36, s60                                // 000000008F18: 85153C24
	s_mov_b64 exec, s[20:21]                                   // 000000008F1C: BEFE0114
	global_atomic_add_f32 v6, v131, s[8:9] offset:8            // 000000008F20: DD348008 00088306
	global_atomic_add_f32 v6, v135, s[8:9] offset:264          // 000000008F28: DD348108 00088706
	s_mov_b64 exec, s[36:37]                                   // 000000008F30: BEFE0124
	v_mov_b32_e32 v6, v58                                      // 000000008F34: 7E0C033A
	s_mov_b64 s[60:61], 0                                      // 000000008F38: BEBC0180
	v_readlane_b32 s82, v3, 16                                 // 000000008F3C: D2890052 00012103
	s_and_b32 s82, s82, 0xffffff                               // 000000008F44: 8652FF52 00FFFFFF
	s_cmp_lt_u32 s82, s66                                      // 000000008F4C: BF0A4252
	s_cselect_b32 s20, s36, s60                                // 000000008F50: 85143C24
	v_readlane_b32 s82, v3, 17                                 // 000000008F54: D2890052 00012303
	s_and_b32 s82, s82, 0xffffff                               // 000000008F5C: 8652FF52 00FFFFFF
	s_cmp_lt_u32 s82, s66                                      // 000000008F64: BF0A4252
	s_cselect_b32 s21, s36, s60                                // 000000008F68: 85153C24
	s_mov_b64 exec, s[20:21]                                   // 000000008F6C: BEFE0114
	global_atomic_add_f32 v6, v138, s[8:9] offset:8            // 000000008F70: DD348008 00088A06
	global_atomic_add_f32 v6, v142, s[8:9] offset:264          // 000000008F78: DD348108 00088E06
	s_mov_b64 exec, s[36:37]                                   // 000000008F80: BEFE0124
	v_mov_b32_e32 v6, v59                                      // 000000008F84: 7E0C033B
	s_mov_b64 s[60:61], 0                                      // 000000008F88: BEBC0180
	v_readlane_b32 s82, v3, 18                                 // 000000008F8C: D2890052 00012503
	s_and_b32 s82, s82, 0xffffff                               // 000000008F94: 8652FF52 00FFFFFF
	s_cmp_lt_u32 s82, s66                                      // 000000008F9C: BF0A4252
	s_cselect_b32 s20, s36, s60                                // 000000008FA0: 85143C24
	v_readlane_b32 s82, v3, 19                                 // 000000008FA4: D2890052 00012703
	s_and_b32 s82, s82, 0xffffff                               // 000000008FAC: 8652FF52 00FFFFFF
	s_cmp_lt_u32 s82, s66                                      // 000000008FB4: BF0A4252
	s_cselect_b32 s21, s36, s60                                // 000000008FB8: 85153C24
	s_mov_b64 exec, s[20:21]                                   // 000000008FBC: BEFE0114
	global_atomic_add_f32 v6, v139, s[8:9] offset:8            // 000000008FC0: DD348008 00088B06
	global_atomic_add_f32 v6, v143, s[8:9] offset:264          // 000000008FC8: DD348108 00088F06
	s_mov_b64 exec, s[36:37]                                   // 000000008FD0: BEFE0124
	s_branch label_3020                                        // 000000008FD4: BF8216A7

0000000000008fd8 <label_1979>:
	s_waitcnt vmcnt(20) lgkmcnt(0)                             // 000000008FD8: BF8C4074
	v_mul_f32_dpp v4, v24, v35 row_newbcast:0 row_mask:0xf bank_mask:0xf// 000000008FDC: 0A0846FA FF015018
	v_mfma_f32_16x16x32_fp8_fp8 v[8:11], a[80:81], a[0:1], 0   // 000000008FE4: D3F30008 1A020150
	buffer_load_dword v25, v22, s[32:35], 0 offen              // 000000008FEC: E0501000 80081916
	buffer_load_dwordx4 a[112:115], v60, s[24:27], 0 offen     // 000000008FF4: E05C1000 8086703C
	v_mfma_f32_16x16x32_fp8_fp8 v[8:11], a[82:83], a[2:3], v[8:11]// 000000008FFC: D3F30008 1C220552
	v_mfma_f32_16x16x32_fp8_fp8 v[8:11], a[84:85], a[4:5], v[8:11]// 000000009004: D3F30008 1C220954
	v_mfma_f32_16x16x32_fp8_fp8 v[8:11], a[86:87], a[6:7], v[8:11]// 00000000900C: D3F30008 1C220D56
	v_mfma_f32_16x16x32_fp8_fp8 v[12:15], a[88:89], a[0:1], 0  // 000000009014: D3F3000C 1A020158
	buffer_load_dwordx4 a[116:119], v60, s[24:27], 0 offen offset:1024// 00000000901C: E05C1400 8086743C
	v_mfma_f32_16x16x32_fp8_fp8 v[12:15], a[90:91], a[2:3], v[12:15]// 000000009024: D3F3000C 1C32055A
	v_mfma_f32_16x16x32_fp8_fp8 v[12:15], a[92:93], a[4:5], v[12:15]// 00000000902C: D3F3000C 1C32095C
	v_mfma_f32_16x16x32_fp8_fp8 v[12:15], a[94:95], a[6:7], v[12:15]// 000000009034: D3F3000C 1C320D5E
	v_fma_f32 v64, v8, v4, v64                                 // 00000000903C: D1CB0040 05020908
	v_fma_f32 v65, v9, v4, v65                                 // 000000009044: D1CB0041 05060909
	v_fma_f32 v66, v10, v4, v66                                // 00000000904C: D1CB0042 050A090A
	v_fma_f32 v67, v11, v4, v67                                // 000000009054: D1CB0043 050E090B
	v_mul_f32_dpp v6, v24, v36 row_newbcast:0 row_mask:0xf bank_mask:0xf// 00000000905C: 0A0C48FA FF015018
	v_mfma_f32_16x16x32_fp8_fp8 v[8:11], a[80:81], a[8:9], 0   // 000000009064: D3F30008 1A021150
	buffer_load_dwordx4 a[120:123], v61, s[24:27], 0 offen     // 00000000906C: E05C1000 8086783D
	v_mfma_f32_16x16x32_fp8_fp8 v[8:11], a[82:83], a[10:11], v[8:11]// 000000009074: D3F30008 1C221552
	v_mfma_f32_16x16x32_fp8_fp8 v[8:11], a[84:85], a[12:13], v[8:11]// 00000000907C: D3F30008 1C221954
	v_mfma_f32_16x16x32_fp8_fp8 v[8:11], a[86:87], a[14:15], v[8:11]// 000000009084: D3F30008 1C221D56
	v_fma_f32 v84, v12, v4, v84                                // 00000000908C: D1CB0054 0552090C
	v_fma_f32 v85, v13, v4, v85                                // 000000009094: D1CB0055 0556090D
	v_fma_f32 v86, v14, v4, v86                                // 00000000909C: D1CB0056 055A090E
	v_fma_f32 v87, v15, v4, v87                                // 0000000090A4: D1CB0057 055E090F
	v_mfma_f32_16x16x32_fp8_fp8 v[12:15], a[88:89], a[8:9], 0  // 0000000090AC: D3F3000C 1A021158
	buffer_load_dwordx4 a[124:127], v61, s[24:27], 0 offen offset:1024// 0000000090B4: E05C1400 80867C3D
	buffer_load_dword v50, s[20:23], 0 offen lds               // 0000000090BC: E0511000 80050032
	s_add_u32 m0, 0x100, s50                                   // 0000000090C4: 807C32FF 00000100
	v_mfma_f32_16x16x32_fp8_fp8 v[12:15], a[90:91], a[10:11], v[12:15]// 0000000090CC: D3F3000C 1C32155A
	v_mfma_f32_16x16x32_fp8_fp8 v[12:15], a[92:93], a[12:13], v[12:15]// 0000000090D4: D3F3000C 1C32195C
	buffer_load_dword v51, s[20:23], 0 offen lds               // 0000000090DC: E0511000 80050033
	s_add_u32 m0, 0x200, s50                                   // 0000000090E4: 807C32FF 00000200
	v_mfma_f32_16x16x32_fp8_fp8 v[12:15], a[94:95], a[14:15], v[12:15]// 0000000090EC: D3F3000C 1C321D5E
	v_fma_f32 v68, v8, v6, v68                                 // 0000000090F4: D1CB0044 05120D08
	v_fma_f32 v69, v9, v6, v69                                 // 0000000090FC: D1CB0045 05160D09
	v_fma_f32 v70, v10, v6, v70                                // 000000009104: D1CB0046 051A0D0A
	v_fma_f32 v71, v11, v6, v71                                // 00000000910C: D1CB0047 051E0D0B
	v_mul_f32_dpp v4, v24, v37 row_newbcast:0 row_mask:0xf bank_mask:0xf// 000000009114: 0A084AFA FF015018
	v_mfma_f32_16x16x32_fp8_fp8 v[8:11], a[80:81], a[16:17], 0 // 00000000911C: D3F30008 1A022150
	buffer_load_dword v52, s[20:23], 0 offen lds               // 000000009124: E0511000 80050034
	s_add_u32 m0, 0x300, s50                                   // 00000000912C: 807C32FF 00000300
	v_mfma_f32_16x16x32_fp8_fp8 v[8:11], a[82:83], a[18:19], v[8:11]// 000000009134: D3F30008 1C222552
	v_mfma_f32_16x16x32_fp8_fp8 v[8:11], a[84:85], a[20:21], v[8:11]// 00000000913C: D3F30008 1C222954
	buffer_load_dword v53, s[20:23], 0 offen lds               // 000000009144: E0511000 80050035
	s_add_u32 m0, 0x400, s50                                   // 00000000914C: 807C32FF 00000400
	v_mfma_f32_16x16x32_fp8_fp8 v[8:11], a[86:87], a[22:23], v[8:11]// 000000009154: D3F30008 1C222D56
	v_fma_f32 v88, v12, v6, v88                                // 00000000915C: D1CB0058 05620D0C
	v_fma_f32 v89, v13, v6, v89                                // 000000009164: D1CB0059 05660D0D
	v_fma_f32 v90, v14, v6, v90                                // 00000000916C: D1CB005A 056A0D0E
	v_fma_f32 v91, v15, v6, v91                                // 000000009174: D1CB005B 056E0D0F
	v_mfma_f32_16x16x32_fp8_fp8 v[12:15], a[88:89], a[16:17], 0// 00000000917C: D3F3000C 1A022158
	buffer_load_dword v54, s[20:23], 0 offen lds               // 000000009184: E0511000 80050036
	s_add_u32 m0, 0x500, s50                                   // 00000000918C: 807C32FF 00000500
	v_mfma_f32_16x16x32_fp8_fp8 v[12:15], a[90:91], a[18:19], v[12:15]// 000000009194: D3F3000C 1C32255A
	v_mfma_f32_16x16x32_fp8_fp8 v[12:15], a[92:93], a[20:21], v[12:15]// 00000000919C: D3F3000C 1C32295C
	buffer_load_dword v55, s[20:23], 0 offen lds               // 0000000091A4: E0511000 80050037
	s_add_u32 m0, 0x600, s50                                   // 0000000091AC: 807C32FF 00000600
	v_mfma_f32_16x16x32_fp8_fp8 v[12:15], a[94:95], a[22:23], v[12:15]// 0000000091B4: D3F3000C 1C322D5E
	v_fma_f32 v72, v8, v4, v72                                 // 0000000091BC: D1CB0048 05220908
	v_fma_f32 v73, v9, v4, v73                                 // 0000000091C4: D1CB0049 05260909
	v_fma_f32 v74, v10, v4, v74                                // 0000000091CC: D1CB004A 052A090A
	v_fma_f32 v75, v11, v4, v75                                // 0000000091D4: D1CB004B 052E090B
	v_mul_f32_dpp v6, v24, v38 row_newbcast:0 row_mask:0xf bank_mask:0xf// 0000000091DC: 0A0C4CFA FF015018
	v_mfma_f32_16x16x32_fp8_fp8 v[8:11], a[80:81], a[24:25], 0 // 0000000091E4: D3F30008 1A023150
	buffer_load_dword v56, s[20:23], 0 offen lds               // 0000000091EC: E0511000 80050038
	s_add_u32 m0, 0x700, s50                                   // 0000000091F4: 807C32FF 00000700
	v_mfma_f32_16x16x32_fp8_fp8 v[8:11], a[82:83], a[26:27], v[8:11]// 0000000091FC: D3F30008 1C223552
	v_mfma_f32_16x16x32_fp8_fp8 v[8:11], a[84:85], a[28:29], v[8:11]// 000000009204: D3F30008 1C223954
	buffer_load_dword v57, s[20:23], 0 offen lds               // 00000000920C: E0511000 80050039
	s_add_u32 m0, 0x800, s50                                   // 000000009214: 807C32FF 00000800
	v_mfma_f32_16x16x32_fp8_fp8 v[8:11], a[86:87], a[30:31], v[8:11]// 00000000921C: D3F30008 1C223D56
	v_fma_f32 v92, v12, v4, v92                                // 000000009224: D1CB005C 0572090C
	v_fma_f32 v93, v13, v4, v93                                // 00000000922C: D1CB005D 0576090D
	v_fma_f32 v94, v14, v4, v94                                // 000000009234: D1CB005E 057A090E
	v_fma_f32 v95, v15, v4, v95                                // 00000000923C: D1CB005F 057E090F
	v_mfma_f32_16x16x32_fp8_fp8 v[12:15], a[88:89], a[24:25], 0// 000000009244: D3F3000C 1A023158
	buffer_load_dword v58, s[20:23], 0 offen lds               // 00000000924C: E0511000 8005003A
	s_add_u32 m0, 0x900, s50                                   // 000000009254: 807C32FF 00000900
	v_mfma_f32_16x16x32_fp8_fp8 v[12:15], a[90:91], a[26:27], v[12:15]// 00000000925C: D3F3000C 1C32355A
	v_mfma_f32_16x16x32_fp8_fp8 v[12:15], a[92:93], a[28:29], v[12:15]// 000000009264: D3F3000C 1C32395C
	buffer_load_dword v59, s[20:23], 0 offen lds               // 00000000926C: E0511000 8005003B
	s_add_u32 m0, 0, s48                                       // 000000009274: 807C3080
	v_mfma_f32_16x16x32_fp8_fp8 v[12:15], a[94:95], a[30:31], v[12:15]// 000000009278: D3F3000C 1C323D5E
	v_fma_f32 v76, v8, v6, v76                                 // 000000009280: D1CB004C 05320D08
	v_fma_f32 v77, v9, v6, v77                                 // 000000009288: D1CB004D 05360D09
	v_fma_f32 v78, v10, v6, v78                                // 000000009290: D1CB004E 053A0D0A
	v_fma_f32 v79, v11, v6, v79                                // 000000009298: D1CB004F 053E0D0B
	v_mul_f32_dpp v4, v24, v39 row_newbcast:0 row_mask:0xf bank_mask:0xf// 0000000092A0: 0A084EFA FF015018
	v_mfma_f32_16x16x32_fp8_fp8 v[8:11], a[80:81], a[32:33], 0 // 0000000092A8: D3F30008 1A024150
	buffer_load_dword v45, v30, s[28:31], 0 offen              // 0000000092B0: E0501000 80072D1E
	v_mfma_f32_16x16x32_fp8_fp8 v[8:11], a[82:83], a[34:35], v[8:11]// 0000000092B8: D3F30008 1C224552
	v_mfma_f32_16x16x32_fp8_fp8 v[8:11], a[84:85], a[36:37], v[8:11]// 0000000092C0: D3F30008 1C224954
	buffer_load_dword v46, v31, s[28:31], 0 offen              // 0000000092C8: E0501000 80072E1F
	v_mfma_f32_16x16x32_fp8_fp8 v[8:11], a[86:87], a[38:39], v[8:11]// 0000000092D0: D3F30008 1C224D56
	v_fma_f32 v96, v12, v6, v96                                // 0000000092D8: D1CB0060 05820D0C
	v_fma_f32 v97, v13, v6, v97                                // 0000000092E0: D1CB0061 05860D0D
	v_fma_f32 v98, v14, v6, v98                                // 0000000092E8: D1CB0062 058A0D0E
	v_fma_f32 v99, v15, v6, v99                                // 0000000092F0: D1CB0063 058E0D0F
	v_mfma_f32_16x16x32_fp8_fp8 v[12:15], a[88:89], a[32:33], 0// 0000000092F8: D3F3000C 1A024158
	buffer_load_dword v47, v32, s[28:31], 0 offen              // 000000009300: E0501000 80072F20
	v_mfma_f32_16x16x32_fp8_fp8 v[12:15], a[90:91], a[34:35], v[12:15]// 000000009308: D3F3000C 1C32455A
	v_mfma_f32_16x16x32_fp8_fp8 v[12:15], a[92:93], a[36:37], v[12:15]// 000000009310: D3F3000C 1C32495C
	buffer_load_dword v48, v33, s[28:31], 0 offen              // 000000009318: E0501000 80073021
	v_mfma_f32_16x16x32_fp8_fp8 v[12:15], a[94:95], a[38:39], v[12:15]// 000000009320: D3F3000C 1C324D5E
	v_fma_f32 v80, v8, v4, v80                                 // 000000009328: D1CB0050 05420908
	v_fma_f32 v81, v9, v4, v81                                 // 000000009330: D1CB0051 05460909
	v_fma_f32 v82, v10, v4, v82                                // 000000009338: D1CB0052 054A090A
	v_fma_f32 v83, v11, v4, v83                                // 000000009340: D1CB0053 054E090B
	v_fma_f32 v100, v12, v4, v100                              // 000000009348: D1CB0064 0592090C
	v_fma_f32 v101, v13, v4, v101                              // 000000009350: D1CB0065 0596090D
	v_fma_f32 v102, v14, v4, v102                              // 000000009358: D1CB0066 059A090E
	v_fma_f32 v103, v15, v4, v103                              // 000000009360: D1CB0067 059E090F
	buffer_load_dword v49, v34, s[28:31], 0 offen              // 000000009368: E0501000 80073122
	s_waitcnt vmcnt(20)                                        // 000000009370: BF8C4F74
	s_barrier                                                  // 000000009374: BF8A0000
	v_mul_f32_dpp v4, v27, v35 row_newbcast:0 row_mask:0xf bank_mask:0xf// 000000009378: 0A0846FA FF01501B
	v_mfma_f32_16x16x32_fp8_fp8 v[8:11], a[96:97], a[0:1], 0   // 000000009380: D3F30008 1A020160
	buffer_load_dword v28, v23, s[32:35], 0 offen              // 000000009388: E0501000 80081C17
	buffer_load_dwordx4 a[80:83], v60, s[84:87], 0 offen       // 000000009390: E05C1000 8095503C
	v_mfma_f32_16x16x32_fp8_fp8 v[8:11], a[98:99], a[2:3], v[8:11]// 000000009398: D3F30008 1C220562
	v_mfma_f32_16x16x32_fp8_fp8 v[8:11], a[100:101], a[4:5], v[8:11]// 0000000093A0: D3F30008 1C220964
	ds_read_b128 a[40:43], v2 offset:10368                     // 0000000093A8: DBFE2880 28000002
	ds_read_b128 a[44:47], v2 offset:10432                     // 0000000093B0: DBFE28C0 2C000002
	v_mfma_f32_16x16x32_fp8_fp8 v[8:11], a[102:103], a[6:7], v[8:11]// 0000000093B8: D3F30008 1C220D66
	v_mfma_f32_16x16x32_fp8_fp8 v[12:15], a[104:105], a[0:1], 0// 0000000093C0: D3F3000C 1A020168
	buffer_load_dwordx4 a[84:87], v60, s[84:87], 0 offen offset:1024// 0000000093C8: E05C1400 8095543C
	v_mfma_f32_16x16x32_fp8_fp8 v[12:15], a[106:107], a[2:3], v[12:15]// 0000000093D0: D3F3000C 1C32056A
	v_mfma_f32_16x16x32_fp8_fp8 v[12:15], a[108:109], a[4:5], v[12:15]// 0000000093D8: D3F3000C 1C32096C
	ds_read_b128 a[48:51], v2 offset:10880                     // 0000000093E0: DBFE2A80 30000002
	ds_read_b128 a[52:55], v2 offset:10944                     // 0000000093E8: DBFE2AC0 34000002
	v_mfma_f32_16x16x32_fp8_fp8 v[12:15], a[110:111], a[6:7], v[12:15]// 0000000093F0: D3F3000C 1C320D6E
	v_fma_f32 v104, v8, v4, v104                               // 0000000093F8: D1CB0068 05A20908
	v_fma_f32 v105, v9, v4, v105                               // 000000009400: D1CB0069 05A60909
	v_fma_f32 v106, v10, v4, v106                              // 000000009408: D1CB006A 05AA090A
	v_fma_f32 v107, v11, v4, v107                              // 000000009410: D1CB006B 05AE090B
	v_mul_f32_dpp v6, v27, v36 row_newbcast:0 row_mask:0xf bank_mask:0xf// 000000009418: 0A0C48FA FF01501B
	v_mfma_f32_16x16x32_fp8_fp8 v[8:11], a[96:97], a[8:9], 0   // 000000009420: D3F30008 1A021160
	buffer_load_dwordx4 a[88:91], v61, s[84:87], 0 offen       // 000000009428: E05C1000 8095583D
	v_mfma_f32_16x16x32_fp8_fp8 v[8:11], a[98:99], a[10:11], v[8:11]// 000000009430: D3F30008 1C221562
	v_mfma_f32_16x16x32_fp8_fp8 v[8:11], a[100:101], a[12:13], v[8:11]// 000000009438: D3F30008 1C221964
	ds_read_b128 a[56:59], v2 offset:11392                     // 000000009440: DBFE2C80 38000002
	ds_read_b128 a[60:63], v2 offset:11456                     // 000000009448: DBFE2CC0 3C000002
	v_mfma_f32_16x16x32_fp8_fp8 v[8:11], a[102:103], a[14:15], v[8:11]// 000000009450: D3F30008 1C221D66
	v_fma_f32 v124, v12, v4, v124                              // 000000009458: D1CB007C 05F2090C
	v_fma_f32 v125, v13, v4, v125                              // 000000009460: D1CB007D 05F6090D
	v_fma_f32 v126, v14, v4, v126                              // 000000009468: D1CB007E 05FA090E
	v_fma_f32 v127, v15, v4, v127                              // 000000009470: D1CB007F 05FE090F
	v_mfma_f32_16x16x32_fp8_fp8 v[12:15], a[104:105], a[8:9], 0// 000000009478: D3F3000C 1A021168
	buffer_load_dwordx4 a[92:95], v61, s[84:87], 0 offen offset:1024// 000000009480: E05C1400 80955C3D
	v_mfma_f32_16x16x32_fp8_fp8 v[12:15], a[106:107], a[10:11], v[12:15]// 000000009488: D3F3000C 1C32156A
	v_mfma_f32_16x16x32_fp8_fp8 v[12:15], a[108:109], a[12:13], v[12:15]// 000000009490: D3F3000C 1C32196C
	ds_read_b128 a[64:67], v2 offset:11904                     // 000000009498: DBFE2E80 40000002
	ds_read_b128 a[68:71], v2 offset:11968                     // 0000000094A0: DBFE2EC0 44000002
	v_mfma_f32_16x16x32_fp8_fp8 v[12:15], a[110:111], a[14:15], v[12:15]// 0000000094A8: D3F3000C 1C321D6E
	v_fma_f32 v108, v8, v6, v108                               // 0000000094B0: D1CB006C 05B20D08
	v_fma_f32 v109, v9, v6, v109                               // 0000000094B8: D1CB006D 05B60D09
	v_fma_f32 v110, v10, v6, v110                              // 0000000094C0: D1CB006E 05BA0D0A
	v_fma_f32 v111, v11, v6, v111                              // 0000000094C8: D1CB006F 05BE0D0B
	v_mul_f32_dpp v4, v27, v37 row_newbcast:0 row_mask:0xf bank_mask:0xf// 0000000094D0: 0A084AFA FF01501B
	v_mfma_f32_16x16x32_fp8_fp8 v[8:11], a[96:97], a[16:17], 0 // 0000000094D8: D3F30008 1A022160
	v_mfma_f32_16x16x32_fp8_fp8 v[8:11], a[98:99], a[18:19], v[8:11]// 0000000094E0: D3F30008 1C222562
	v_mfma_f32_16x16x32_fp8_fp8 v[8:11], a[100:101], a[20:21], v[8:11]// 0000000094E8: D3F30008 1C222964
	ds_read_b128 a[72:75], v2 offset:12416                     // 0000000094F0: DBFE3080 48000002
	ds_read_b128 a[76:79], v2 offset:12480                     // 0000000094F8: DBFE30C0 4C000002
	v_mfma_f32_16x16x32_fp8_fp8 v[8:11], a[102:103], a[22:23], v[8:11]// 000000009500: D3F30008 1C222D66
	v_fma_f32 v128, v12, v6, v128                              // 000000009508: D1CB0080 06020D0C
	v_fma_f32 v129, v13, v6, v129                              // 000000009510: D1CB0081 06060D0D
	v_fma_f32 v130, v14, v6, v130                              // 000000009518: D1CB0082 060A0D0E
	v_fma_f32 v131, v15, v6, v131                              // 000000009520: D1CB0083 060E0D0F
	v_mfma_f32_16x16x32_fp8_fp8 v[12:15], a[104:105], a[16:17], 0// 000000009528: D3F3000C 1A022168
	v_mfma_f32_16x16x32_fp8_fp8 v[12:15], a[106:107], a[18:19], v[12:15]// 000000009530: D3F3000C 1C32256A
	v_mfma_f32_16x16x32_fp8_fp8 v[12:15], a[108:109], a[20:21], v[12:15]// 000000009538: D3F3000C 1C32296C
	v_mfma_f32_16x16x32_fp8_fp8 v[12:15], a[110:111], a[22:23], v[12:15]// 000000009540: D3F3000C 1C322D6E
	v_fma_f32 v112, v8, v4, v112                               // 000000009548: D1CB0070 05C20908
	v_fma_f32 v113, v9, v4, v113                               // 000000009550: D1CB0071 05C60909
	v_fma_f32 v114, v10, v4, v114                              // 000000009558: D1CB0072 05CA090A
	v_fma_f32 v115, v11, v4, v115                              // 000000009560: D1CB0073 05CE090B
	v_mul_f32_dpp v6, v27, v38 row_newbcast:0 row_mask:0xf bank_mask:0xf// 000000009568: 0A0C4CFA FF01501B
	v_mfma_f32_16x16x32_fp8_fp8 v[8:11], a[96:97], a[24:25], 0 // 000000009570: D3F30008 1A023160
	v_mfma_f32_16x16x32_fp8_fp8 v[8:11], a[98:99], a[26:27], v[8:11]// 000000009578: D3F30008 1C223562
	v_mfma_f32_16x16x32_fp8_fp8 v[8:11], a[100:101], a[28:29], v[8:11]// 000000009580: D3F30008 1C223964
	v_mfma_f32_16x16x32_fp8_fp8 v[8:11], a[102:103], a[30:31], v[8:11]// 000000009588: D3F30008 1C223D66
	v_fma_f32 v132, v12, v4, v132                              // 000000009590: D1CB0084 0612090C
	v_fma_f32 v133, v13, v4, v133                              // 000000009598: D1CB0085 0616090D
	v_fma_f32 v134, v14, v4, v134                              // 0000000095A0: D1CB0086 061A090E
	v_fma_f32 v135, v15, v4, v135                              // 0000000095A8: D1CB0087 061E090F
	v_mfma_f32_16x16x32_fp8_fp8 v[12:15], a[104:105], a[24:25], 0// 0000000095B0: D3F3000C 1A023168
	v_mfma_f32_16x16x32_fp8_fp8 v[12:15], a[106:107], a[26:27], v[12:15]// 0000000095B8: D3F3000C 1C32356A
	v_mfma_f32_16x16x32_fp8_fp8 v[12:15], a[108:109], a[28:29], v[12:15]// 0000000095C0: D3F3000C 1C32396C
	v_mfma_f32_16x16x32_fp8_fp8 v[12:15], a[110:111], a[30:31], v[12:15]// 0000000095C8: D3F3000C 1C323D6E
	v_fma_f32 v116, v8, v6, v116                               // 0000000095D0: D1CB0074 05D20D08
	v_fma_f32 v117, v9, v6, v117                               // 0000000095D8: D1CB0075 05D60D09
	v_fma_f32 v118, v10, v6, v118                              // 0000000095E0: D1CB0076 05DA0D0A
	v_fma_f32 v119, v11, v6, v119                              // 0000000095E8: D1CB0077 05DE0D0B
	v_mul_f32_dpp v4, v27, v39 row_newbcast:0 row_mask:0xf bank_mask:0xf// 0000000095F0: 0A084EFA FF01501B
	v_mfma_f32_16x16x32_fp8_fp8 v[8:11], a[96:97], a[32:33], 0 // 0000000095F8: D3F30008 1A024160
	s_add_u32 s60, 0x180, s80                                  // 000000009600: 803C50FF 00000180
	s_cmp_lt_u32 s60, s81                                      // 000000009608: BF0A513C
	s_cselect_b32 s57, s57, 0                                  // 00000000960C: 85398039
	s_cselect_b32 s3, s3, 0                                    // 000000009610: 85038003
	v_mfma_f32_16x16x32_fp8_fp8 v[8:11], a[98:99], a[34:35], v[8:11]// 000000009614: D3F30008 1C224562
	s_add_u32 s60, 0x100, s80                                  // 00000000961C: 803C50FF 00000100
	s_cmp_lt_u32 s60, s81                                      // 000000009624: BF0A513C
	s_cselect_b32 s58, s58, 0                                  // 000000009628: 853A803A
	v_mfma_f32_16x16x32_fp8_fp8 v[8:11], a[100:101], a[36:37], v[8:11]// 00000000962C: D3F30008 1C224964
	s_add_u32 s60, 0x100, s80                                  // 000000009634: 803C50FF 00000100
	s_cmp_lt_u32 s60, s81                                      // 00000000963C: BF0A513C
	s_cselect_b32 s83, s83, 0                                  // 000000009640: 85538053
	s_cselect_b32 s4, s4, 0                                    // 000000009644: 85048004
	v_mfma_f32_16x16x32_fp8_fp8 v[8:11], a[102:103], a[38:39], v[8:11]// 000000009648: D3F30008 1C224D66
	s_add_u32 s24, s58, s24                                    // 000000009650: 8018183A
	s_addc_u32 s25, 0, s25                                     // 000000009654: 82191980
	v_fma_f32 v136, v12, v6, v136                              // 000000009658: D1CB0088 06220D0C
	v_fma_f32 v137, v13, v6, v137                              // 000000009660: D1CB0089 06260D0D
	v_fma_f32 v138, v14, v6, v138                              // 000000009668: D1CB008A 062A0D0E
	v_fma_f32 v139, v15, v6, v139                              // 000000009670: D1CB008B 062E0D0F
	v_mfma_f32_16x16x32_fp8_fp8 v[12:15], a[104:105], a[32:33], 0// 000000009678: D3F3000C 1A024168
	s_add_u32 s20, s57, s20                                    // 000000009680: 80141439
	s_addc_u32 s21, 0, s21                                     // 000000009684: 82151580
	s_add_u32 s28, s3, s28                                     // 000000009688: 801C1C03
	s_addc_u32 s29, 0, s29                                     // 00000000968C: 821D1D80
	v_mfma_f32_16x16x32_fp8_fp8 v[12:15], a[106:107], a[34:35], v[12:15]// 000000009690: D3F3000C 1C32456A
	s_add_u32 s84, s83, s84                                    // 000000009698: 80545453
	s_addc_u32 s85, 0, s85                                     // 00000000969C: 82555580
	v_mfma_f32_16x16x32_fp8_fp8 v[12:15], a[108:109], a[36:37], v[12:15]// 0000000096A0: D3F3000C 1C32496C
	s_add_u32 s32, s4, s32                                     // 0000000096A8: 80202004
	s_addc_u32 s33, 0, s33                                     // 0000000096AC: 82212180
	v_mfma_f32_16x16x32_fp8_fp8 v[12:15], a[110:111], a[38:39], v[12:15]// 0000000096B0: D3F3000C 1C324D6E
	v_fma_f32 v120, v8, v4, v120                               // 0000000096B8: D1CB0078 05E20908
	v_fma_f32 v121, v9, v4, v121                               // 0000000096C0: D1CB0079 05E60909
	v_fma_f32 v122, v10, v4, v122                              // 0000000096C8: D1CB007A 05EA090A
	v_fma_f32 v123, v11, v4, v123                              // 0000000096D0: D1CB007B 05EE090B
	v_fma_f32 v140, v12, v4, v140                              // 0000000096D8: D1CB008C 0632090C
	v_fma_f32 v141, v13, v4, v141                              // 0000000096E0: D1CB008D 0636090D
	v_fma_f32 v142, v14, v4, v142                              // 0000000096E8: D1CB008E 063A090E
	v_fma_f32 v143, v15, v4, v143                              // 0000000096F0: D1CB008F 063E090F
	s_addk_i32 s80, 0x80                                       // 0000000096F8: B7500080
	s_cmp_lt_i32 s80, s81                                      // 0000000096FC: BF045150
	s_cbranch_scc0 label_243C                                  // 000000009700: BF8408F8
	s_waitcnt vmcnt(20) lgkmcnt(0)                             // 000000009704: BF8C4074
	v_mul_f32_dpp v4, v25, v40 row_newbcast:0 row_mask:0xf bank_mask:0xf// 000000009708: 0A0850FA FF015019
	v_mfma_f32_16x16x32_fp8_fp8 v[8:11], a[112:113], a[40:41], 0// 000000009710: D3F30008 1A025170
	buffer_load_dword v26, v22, s[32:35], 0 offen              // 000000009718: E0501000 80081A16
	buffer_load_dwordx4 a[96:99], v60, s[24:27], 0 offen       // 000000009720: E05C1000 8086603C
	v_mfma_f32_16x16x32_fp8_fp8 v[8:11], a[114:115], a[42:43], v[8:11]// 000000009728: D3F30008 1C225572
	v_mfma_f32_16x16x32_fp8_fp8 v[8:11], a[116:117], a[44:45], v[8:11]// 000000009730: D3F30008 1C225974
	v_mfma_f32_16x16x32_fp8_fp8 v[8:11], a[118:119], a[46:47], v[8:11]// 000000009738: D3F30008 1C225D76
	v_mfma_f32_16x16x32_fp8_fp8 v[12:15], a[120:121], a[40:41], 0// 000000009740: D3F3000C 1A025178
	buffer_load_dwordx4 a[100:103], v60, s[24:27], 0 offen offset:1024// 000000009748: E05C1400 8086643C
	v_mfma_f32_16x16x32_fp8_fp8 v[12:15], a[122:123], a[42:43], v[12:15]// 000000009750: D3F3000C 1C32557A
	v_mfma_f32_16x16x32_fp8_fp8 v[12:15], a[124:125], a[44:45], v[12:15]// 000000009758: D3F3000C 1C32597C
	v_mfma_f32_16x16x32_fp8_fp8 v[12:15], a[126:127], a[46:47], v[12:15]// 000000009760: D3F3000C 1C325D7E
	v_fma_f32 v64, v8, v4, v64                                 // 000000009768: D1CB0040 05020908
	v_fma_f32 v65, v9, v4, v65                                 // 000000009770: D1CB0041 05060909
	v_fma_f32 v66, v10, v4, v66                                // 000000009778: D1CB0042 050A090A
	v_fma_f32 v67, v11, v4, v67                                // 000000009780: D1CB0043 050E090B
	v_mul_f32_dpp v6, v25, v41 row_newbcast:0 row_mask:0xf bank_mask:0xf// 000000009788: 0A0C52FA FF015019
	v_mfma_f32_16x16x32_fp8_fp8 v[8:11], a[112:113], a[48:49], 0// 000000009790: D3F30008 1A026170
	buffer_load_dwordx4 a[104:107], v61, s[24:27], 0 offen     // 000000009798: E05C1000 8086683D
	v_mfma_f32_16x16x32_fp8_fp8 v[8:11], a[114:115], a[50:51], v[8:11]// 0000000097A0: D3F30008 1C226572
	v_mfma_f32_16x16x32_fp8_fp8 v[8:11], a[116:117], a[52:53], v[8:11]// 0000000097A8: D3F30008 1C226974
	v_mfma_f32_16x16x32_fp8_fp8 v[8:11], a[118:119], a[54:55], v[8:11]// 0000000097B0: D3F30008 1C226D76
	v_fma_f32 v84, v12, v4, v84                                // 0000000097B8: D1CB0054 0552090C
	v_fma_f32 v85, v13, v4, v85                                // 0000000097C0: D1CB0055 0556090D
	v_fma_f32 v86, v14, v4, v86                                // 0000000097C8: D1CB0056 055A090E
	v_fma_f32 v87, v15, v4, v87                                // 0000000097D0: D1CB0057 055E090F
	v_mfma_f32_16x16x32_fp8_fp8 v[12:15], a[120:121], a[48:49], 0// 0000000097D8: D3F3000C 1A026178
	buffer_load_dwordx4 a[108:111], v61, s[24:27], 0 offen offset:1024// 0000000097E0: E05C1400 80866C3D
	buffer_load_dword v50, s[20:23], 0 offen lds               // 0000000097E8: E0511000 80050032
	s_add_u32 m0, 0x100, s48                                   // 0000000097F0: 807C30FF 00000100
	v_mfma_f32_16x16x32_fp8_fp8 v[12:15], a[122:123], a[50:51], v[12:15]// 0000000097F8: D3F3000C 1C32657A
	v_mfma_f32_16x16x32_fp8_fp8 v[12:15], a[124:125], a[52:53], v[12:15]// 000000009800: D3F3000C 1C32697C
	buffer_load_dword v51, s[20:23], 0 offen lds               // 000000009808: E0511000 80050033
	s_add_u32 m0, 0x200, s48                                   // 000000009810: 807C30FF 00000200
	v_mfma_f32_16x16x32_fp8_fp8 v[12:15], a[126:127], a[54:55], v[12:15]// 000000009818: D3F3000C 1C326D7E
	v_fma_f32 v68, v8, v6, v68                                 // 000000009820: D1CB0044 05120D08
	v_fma_f32 v69, v9, v6, v69                                 // 000000009828: D1CB0045 05160D09
	v_fma_f32 v70, v10, v6, v70                                // 000000009830: D1CB0046 051A0D0A
	v_fma_f32 v71, v11, v6, v71                                // 000000009838: D1CB0047 051E0D0B
	v_mul_f32_dpp v4, v25, v42 row_newbcast:0 row_mask:0xf bank_mask:0xf// 000000009840: 0A0854FA FF015019
	v_mfma_f32_16x16x32_fp8_fp8 v[8:11], a[112:113], a[56:57], 0// 000000009848: D3F30008 1A027170
	buffer_load_dword v52, s[20:23], 0 offen lds               // 000000009850: E0511000 80050034
	s_add_u32 m0, 0x300, s48                                   // 000000009858: 807C30FF 00000300
	v_mfma_f32_16x16x32_fp8_fp8 v[8:11], a[114:115], a[58:59], v[8:11]// 000000009860: D3F30008 1C227572
	v_mfma_f32_16x16x32_fp8_fp8 v[8:11], a[116:117], a[60:61], v[8:11]// 000000009868: D3F30008 1C227974
	buffer_load_dword v53, s[20:23], 0 offen lds               // 000000009870: E0511000 80050035
	s_add_u32 m0, 0x400, s48                                   // 000000009878: 807C30FF 00000400
	v_mfma_f32_16x16x32_fp8_fp8 v[8:11], a[118:119], a[62:63], v[8:11]// 000000009880: D3F30008 1C227D76
	v_fma_f32 v88, v12, v6, v88                                // 000000009888: D1CB0058 05620D0C
	v_fma_f32 v89, v13, v6, v89                                // 000000009890: D1CB0059 05660D0D
	v_fma_f32 v90, v14, v6, v90                                // 000000009898: D1CB005A 056A0D0E
	v_fma_f32 v91, v15, v6, v91                                // 0000000098A0: D1CB005B 056E0D0F
	v_mfma_f32_16x16x32_fp8_fp8 v[12:15], a[120:121], a[56:57], 0// 0000000098A8: D3F3000C 1A027178
	buffer_load_dword v54, s[20:23], 0 offen lds               // 0000000098B0: E0511000 80050036
	s_add_u32 m0, 0x500, s48                                   // 0000000098B8: 807C30FF 00000500
	v_mfma_f32_16x16x32_fp8_fp8 v[12:15], a[122:123], a[58:59], v[12:15]// 0000000098C0: D3F3000C 1C32757A
	v_mfma_f32_16x16x32_fp8_fp8 v[12:15], a[124:125], a[60:61], v[12:15]// 0000000098C8: D3F3000C 1C32797C
	buffer_load_dword v55, s[20:23], 0 offen lds               // 0000000098D0: E0511000 80050037
	s_add_u32 m0, 0x600, s48                                   // 0000000098D8: 807C30FF 00000600
	v_mfma_f32_16x16x32_fp8_fp8 v[12:15], a[126:127], a[62:63], v[12:15]// 0000000098E0: D3F3000C 1C327D7E
	v_fma_f32 v72, v8, v4, v72                                 // 0000000098E8: D1CB0048 05220908
	v_fma_f32 v73, v9, v4, v73                                 // 0000000098F0: D1CB0049 05260909
	v_fma_f32 v74, v10, v4, v74                                // 0000000098F8: D1CB004A 052A090A
	v_fma_f32 v75, v11, v4, v75                                // 000000009900: D1CB004B 052E090B
	v_mul_f32_dpp v6, v25, v43 row_newbcast:0 row_mask:0xf bank_mask:0xf// 000000009908: 0A0C56FA FF015019
	v_mfma_f32_16x16x32_fp8_fp8 v[8:11], a[112:113], a[64:65], 0// 000000009910: D3F30008 1A028170
	buffer_load_dword v56, s[20:23], 0 offen lds               // 000000009918: E0511000 80050038
	s_add_u32 m0, 0x700, s48                                   // 000000009920: 807C30FF 00000700
	v_mfma_f32_16x16x32_fp8_fp8 v[8:11], a[114:115], a[66:67], v[8:11]// 000000009928: D3F30008 1C228572
	v_mfma_f32_16x16x32_fp8_fp8 v[8:11], a[116:117], a[68:69], v[8:11]// 000000009930: D3F30008 1C228974
	buffer_load_dword v57, s[20:23], 0 offen lds               // 000000009938: E0511000 80050039
	s_add_u32 m0, 0x800, s48                                   // 000000009940: 807C30FF 00000800
	v_mfma_f32_16x16x32_fp8_fp8 v[8:11], a[118:119], a[70:71], v[8:11]// 000000009948: D3F30008 1C228D76
	v_fma_f32 v92, v12, v4, v92                                // 000000009950: D1CB005C 0572090C
	v_fma_f32 v93, v13, v4, v93                                // 000000009958: D1CB005D 0576090D
	v_fma_f32 v94, v14, v4, v94                                // 000000009960: D1CB005E 057A090E
	v_fma_f32 v95, v15, v4, v95                                // 000000009968: D1CB005F 057E090F
	v_mfma_f32_16x16x32_fp8_fp8 v[12:15], a[120:121], a[64:65], 0// 000000009970: D3F3000C 1A028178
	buffer_load_dword v58, s[20:23], 0 offen lds               // 000000009978: E0511000 8005003A
	s_add_u32 m0, 0x900, s48                                   // 000000009980: 807C30FF 00000900
	v_mfma_f32_16x16x32_fp8_fp8 v[12:15], a[122:123], a[66:67], v[12:15]// 000000009988: D3F3000C 1C32857A
	v_mfma_f32_16x16x32_fp8_fp8 v[12:15], a[124:125], a[68:69], v[12:15]// 000000009990: D3F3000C 1C32897C
	buffer_load_dword v59, s[20:23], 0 offen lds               // 000000009998: E0511000 8005003B
	s_add_u32 m0, 0, s49                                       // 0000000099A0: 807C3180
	v_mfma_f32_16x16x32_fp8_fp8 v[12:15], a[126:127], a[70:71], v[12:15]// 0000000099A4: D3F3000C 1C328D7E
	v_fma_f32 v76, v8, v6, v76                                 // 0000000099AC: D1CB004C 05320D08
	v_fma_f32 v77, v9, v6, v77                                 // 0000000099B4: D1CB004D 05360D09
	v_fma_f32 v78, v10, v6, v78                                // 0000000099BC: D1CB004E 053A0D0A
	v_fma_f32 v79, v11, v6, v79                                // 0000000099C4: D1CB004F 053E0D0B
	v_mul_f32_dpp v4, v25, v44 row_newbcast:0 row_mask:0xf bank_mask:0xf// 0000000099CC: 0A0858FA FF015019
	v_mfma_f32_16x16x32_fp8_fp8 v[8:11], a[112:113], a[72:73], 0// 0000000099D4: D3F30008 1A029170
	buffer_load_dword v35, v30, s[28:31], 0 offen              // 0000000099DC: E0501000 8007231E
	v_mfma_f32_16x16x32_fp8_fp8 v[8:11], a[114:115], a[74:75], v[8:11]// 0000000099E4: D3F30008 1C229572
	v_mfma_f32_16x16x32_fp8_fp8 v[8:11], a[116:117], a[76:77], v[8:11]// 0000000099EC: D3F30008 1C229974
	buffer_load_dword v36, v31, s[28:31], 0 offen              // 0000000099F4: E0501000 8007241F
	v_mfma_f32_16x16x32_fp8_fp8 v[8:11], a[118:119], a[78:79], v[8:11]// 0000000099FC: D3F30008 1C229D76
	v_fma_f32 v96, v12, v6, v96                                // 000000009A04: D1CB0060 05820D0C
	v_fma_f32 v97, v13, v6, v97                                // 000000009A0C: D1CB0061 05860D0D
	v_fma_f32 v98, v14, v6, v98                                // 000000009A14: D1CB0062 058A0D0E
	v_fma_f32 v99, v15, v6, v99                                // 000000009A1C: D1CB0063 058E0D0F
	v_mfma_f32_16x16x32_fp8_fp8 v[12:15], a[120:121], a[72:73], 0// 000000009A24: D3F3000C 1A029178
	buffer_load_dword v37, v32, s[28:31], 0 offen              // 000000009A2C: E0501000 80072520
	v_mfma_f32_16x16x32_fp8_fp8 v[12:15], a[122:123], a[74:75], v[12:15]// 000000009A34: D3F3000C 1C32957A
	v_mfma_f32_16x16x32_fp8_fp8 v[12:15], a[124:125], a[76:77], v[12:15]// 000000009A3C: D3F3000C 1C32997C
	buffer_load_dword v38, v33, s[28:31], 0 offen              // 000000009A44: E0501000 80072621
	v_mfma_f32_16x16x32_fp8_fp8 v[12:15], a[126:127], a[78:79], v[12:15]// 000000009A4C: D3F3000C 1C329D7E
	v_fma_f32 v80, v8, v4, v80                                 // 000000009A54: D1CB0050 05420908
	v_fma_f32 v81, v9, v4, v81                                 // 000000009A5C: D1CB0051 05460909
	v_fma_f32 v82, v10, v4, v82                                // 000000009A64: D1CB0052 054A090A
	v_fma_f32 v83, v11, v4, v83                                // 000000009A6C: D1CB0053 054E090B
	v_fma_f32 v100, v12, v4, v100                              // 000000009A74: D1CB0064 0592090C
	v_fma_f32 v101, v13, v4, v101                              // 000000009A7C: D1CB0065 0596090D
	v_fma_f32 v102, v14, v4, v102                              // 000000009A84: D1CB0066 059A090E
	v_fma_f32 v103, v15, v4, v103                              // 000000009A8C: D1CB0067 059E090F
	buffer_load_dword v39, v34, s[28:31], 0 offen              // 000000009A94: E0501000 80072722
	s_waitcnt vmcnt(20)                                        // 000000009A9C: BF8C4F74
	s_barrier                                                  // 000000009AA0: BF8A0000
	v_mul_f32_dpp v4, v28, v40 row_newbcast:0 row_mask:0xf bank_mask:0xf// 000000009AA4: 0A0850FA FF01501C
	v_mfma_f32_16x16x32_fp8_fp8 v[8:11], a[80:81], a[40:41], 0 // 000000009AAC: D3F30008 1A025150
	buffer_load_dword v29, v23, s[32:35], 0 offen              // 000000009AB4: E0501000 80081D17
	buffer_load_dwordx4 a[112:115], v60, s[84:87], 0 offen     // 000000009ABC: E05C1000 8095703C
	v_mfma_f32_16x16x32_fp8_fp8 v[8:11], a[82:83], a[42:43], v[8:11]// 000000009AC4: D3F30008 1C225552
	v_mfma_f32_16x16x32_fp8_fp8 v[8:11], a[84:85], a[44:45], v[8:11]// 000000009ACC: D3F30008 1C225954
	ds_read_b128 a[0:3], v2 offset:20736                       // 000000009AD4: DBFE5100 00000002
	ds_read_b128 a[4:7], v2 offset:20800                       // 000000009ADC: DBFE5140 04000002
	v_mfma_f32_16x16x32_fp8_fp8 v[8:11], a[86:87], a[46:47], v[8:11]// 000000009AE4: D3F30008 1C225D56
	v_mfma_f32_16x16x32_fp8_fp8 v[12:15], a[88:89], a[40:41], 0// 000000009AEC: D3F3000C 1A025158
	buffer_load_dwordx4 a[116:119], v60, s[84:87], 0 offen offset:1024// 000000009AF4: E05C1400 8095743C
	v_mfma_f32_16x16x32_fp8_fp8 v[12:15], a[90:91], a[42:43], v[12:15]// 000000009AFC: D3F3000C 1C32555A
	v_mfma_f32_16x16x32_fp8_fp8 v[12:15], a[92:93], a[44:45], v[12:15]// 000000009B04: D3F3000C 1C32595C
	ds_read_b128 a[8:11], v2 offset:21248                      // 000000009B0C: DBFE5300 08000002
	ds_read_b128 a[12:15], v2 offset:21312                     // 000000009B14: DBFE5340 0C000002
	v_mfma_f32_16x16x32_fp8_fp8 v[12:15], a[94:95], a[46:47], v[12:15]// 000000009B1C: D3F3000C 1C325D5E
	v_fma_f32 v104, v8, v4, v104                               // 000000009B24: D1CB0068 05A20908
	v_fma_f32 v105, v9, v4, v105                               // 000000009B2C: D1CB0069 05A60909
	v_fma_f32 v106, v10, v4, v106                              // 000000009B34: D1CB006A 05AA090A
	v_fma_f32 v107, v11, v4, v107                              // 000000009B3C: D1CB006B 05AE090B
	v_mul_f32_dpp v6, v28, v41 row_newbcast:0 row_mask:0xf bank_mask:0xf// 000000009B44: 0A0C52FA FF01501C
	v_mfma_f32_16x16x32_fp8_fp8 v[8:11], a[80:81], a[48:49], 0 // 000000009B4C: D3F30008 1A026150
	buffer_load_dwordx4 a[120:123], v61, s[84:87], 0 offen     // 000000009B54: E05C1000 8095783D
	v_mfma_f32_16x16x32_fp8_fp8 v[8:11], a[82:83], a[50:51], v[8:11]// 000000009B5C: D3F30008 1C226552
	v_mfma_f32_16x16x32_fp8_fp8 v[8:11], a[84:85], a[52:53], v[8:11]// 000000009B64: D3F30008 1C226954
	ds_read_b128 a[16:19], v2 offset:21760                     // 000000009B6C: DBFE5500 10000002
	ds_read_b128 a[20:23], v2 offset:21824                     // 000000009B74: DBFE5540 14000002
	v_mfma_f32_16x16x32_fp8_fp8 v[8:11], a[86:87], a[54:55], v[8:11]// 000000009B7C: D3F30008 1C226D56
	v_fma_f32 v124, v12, v4, v124                              // 000000009B84: D1CB007C 05F2090C
	v_fma_f32 v125, v13, v4, v125                              // 000000009B8C: D1CB007D 05F6090D
	v_fma_f32 v126, v14, v4, v126                              // 000000009B94: D1CB007E 05FA090E
	v_fma_f32 v127, v15, v4, v127                              // 000000009B9C: D1CB007F 05FE090F
	v_mfma_f32_16x16x32_fp8_fp8 v[12:15], a[88:89], a[48:49], 0// 000000009BA4: D3F3000C 1A026158
	buffer_load_dwordx4 a[124:127], v61, s[84:87], 0 offen offset:1024// 000000009BAC: E05C1400 80957C3D
	v_mfma_f32_16x16x32_fp8_fp8 v[12:15], a[90:91], a[50:51], v[12:15]// 000000009BB4: D3F3000C 1C32655A
	v_mfma_f32_16x16x32_fp8_fp8 v[12:15], a[92:93], a[52:53], v[12:15]// 000000009BBC: D3F3000C 1C32695C
	ds_read_b128 a[24:27], v2 offset:22272                     // 000000009BC4: DBFE5700 18000002
	ds_read_b128 a[28:31], v2 offset:22336                     // 000000009BCC: DBFE5740 1C000002
	v_mfma_f32_16x16x32_fp8_fp8 v[12:15], a[94:95], a[54:55], v[12:15]// 000000009BD4: D3F3000C 1C326D5E
	v_fma_f32 v108, v8, v6, v108                               // 000000009BDC: D1CB006C 05B20D08
	v_fma_f32 v109, v9, v6, v109                               // 000000009BE4: D1CB006D 05B60D09
	v_fma_f32 v110, v10, v6, v110                              // 000000009BEC: D1CB006E 05BA0D0A
	v_fma_f32 v111, v11, v6, v111                              // 000000009BF4: D1CB006F 05BE0D0B
	v_mul_f32_dpp v4, v28, v42 row_newbcast:0 row_mask:0xf bank_mask:0xf// 000000009BFC: 0A0854FA FF01501C
	v_mfma_f32_16x16x32_fp8_fp8 v[8:11], a[80:81], a[56:57], 0 // 000000009C04: D3F30008 1A027150
	v_mfma_f32_16x16x32_fp8_fp8 v[8:11], a[82:83], a[58:59], v[8:11]// 000000009C0C: D3F30008 1C227552
	v_mfma_f32_16x16x32_fp8_fp8 v[8:11], a[84:85], a[60:61], v[8:11]// 000000009C14: D3F30008 1C227954
	ds_read_b128 a[32:35], v2 offset:22784                     // 000000009C1C: DBFE5900 20000002
	ds_read_b128 a[36:39], v2 offset:22848                     // 000000009C24: DBFE5940 24000002
	v_mfma_f32_16x16x32_fp8_fp8 v[8:11], a[86:87], a[62:63], v[8:11]// 000000009C2C: D3F30008 1C227D56
	v_fma_f32 v128, v12, v6, v128                              // 000000009C34: D1CB0080 06020D0C
	v_fma_f32 v129, v13, v6, v129                              // 000000009C3C: D1CB0081 06060D0D
	v_fma_f32 v130, v14, v6, v130                              // 000000009C44: D1CB0082 060A0D0E
	v_fma_f32 v131, v15, v6, v131                              // 000000009C4C: D1CB0083 060E0D0F
	v_mfma_f32_16x16x32_fp8_fp8 v[12:15], a[88:89], a[56:57], 0// 000000009C54: D3F3000C 1A027158
	v_mfma_f32_16x16x32_fp8_fp8 v[12:15], a[90:91], a[58:59], v[12:15]// 000000009C5C: D3F3000C 1C32755A
	v_mfma_f32_16x16x32_fp8_fp8 v[12:15], a[92:93], a[60:61], v[12:15]// 000000009C64: D3F3000C 1C32795C
	v_mfma_f32_16x16x32_fp8_fp8 v[12:15], a[94:95], a[62:63], v[12:15]// 000000009C6C: D3F3000C 1C327D5E
	v_fma_f32 v112, v8, v4, v112                               // 000000009C74: D1CB0070 05C20908
	v_fma_f32 v113, v9, v4, v113                               // 000000009C7C: D1CB0071 05C60909
	v_fma_f32 v114, v10, v4, v114                              // 000000009C84: D1CB0072 05CA090A
	v_fma_f32 v115, v11, v4, v115                              // 000000009C8C: D1CB0073 05CE090B
	v_mul_f32_dpp v6, v28, v43 row_newbcast:0 row_mask:0xf bank_mask:0xf// 000000009C94: 0A0C56FA FF01501C
	v_mfma_f32_16x16x32_fp8_fp8 v[8:11], a[80:81], a[64:65], 0 // 000000009C9C: D3F30008 1A028150
	v_mfma_f32_16x16x32_fp8_fp8 v[8:11], a[82:83], a[66:67], v[8:11]// 000000009CA4: D3F30008 1C228552
	v_mfma_f32_16x16x32_fp8_fp8 v[8:11], a[84:85], a[68:69], v[8:11]// 000000009CAC: D3F30008 1C228954
	v_mfma_f32_16x16x32_fp8_fp8 v[8:11], a[86:87], a[70:71], v[8:11]// 000000009CB4: D3F30008 1C228D56
	v_fma_f32 v132, v12, v4, v132                              // 000000009CBC: D1CB0084 0612090C
	v_fma_f32 v133, v13, v4, v133                              // 000000009CC4: D1CB0085 0616090D
	v_fma_f32 v134, v14, v4, v134                              // 000000009CCC: D1CB0086 061A090E
	v_fma_f32 v135, v15, v4, v135                              // 000000009CD4: D1CB0087 061E090F
	v_mfma_f32_16x16x32_fp8_fp8 v[12:15], a[88:89], a[64:65], 0// 000000009CDC: D3F3000C 1A028158
	v_mfma_f32_16x16x32_fp8_fp8 v[12:15], a[90:91], a[66:67], v[12:15]// 000000009CE4: D3F3000C 1C32855A
	v_mfma_f32_16x16x32_fp8_fp8 v[12:15], a[92:93], a[68:69], v[12:15]// 000000009CEC: D3F3000C 1C32895C
	v_mfma_f32_16x16x32_fp8_fp8 v[12:15], a[94:95], a[70:71], v[12:15]// 000000009CF4: D3F3000C 1C328D5E
	v_fma_f32 v116, v8, v6, v116                               // 000000009CFC: D1CB0074 05D20D08
	v_fma_f32 v117, v9, v6, v117                               // 000000009D04: D1CB0075 05D60D09
	v_fma_f32 v118, v10, v6, v118                              // 000000009D0C: D1CB0076 05DA0D0A
	v_fma_f32 v119, v11, v6, v119                              // 000000009D14: D1CB0077 05DE0D0B
	v_mul_f32_dpp v4, v28, v44 row_newbcast:0 row_mask:0xf bank_mask:0xf// 000000009D1C: 0A0858FA FF01501C
	v_mfma_f32_16x16x32_fp8_fp8 v[8:11], a[80:81], a[72:73], 0 // 000000009D24: D3F30008 1A029150
	s_add_u32 s60, 0x180, s80                                  // 000000009D2C: 803C50FF 00000180
	s_cmp_lt_u32 s60, s81                                      // 000000009D34: BF0A513C
	s_cselect_b32 s57, s57, 0                                  // 000000009D38: 85398039
	s_cselect_b32 s3, s3, 0                                    // 000000009D3C: 85038003
	v_mfma_f32_16x16x32_fp8_fp8 v[8:11], a[82:83], a[74:75], v[8:11]// 000000009D40: D3F30008 1C229552
	s_add_u32 s60, 0x100, s80                                  // 000000009D48: 803C50FF 00000100
	s_cmp_lt_u32 s60, s81                                      // 000000009D50: BF0A513C
	s_cselect_b32 s58, s58, 0                                  // 000000009D54: 853A803A
	v_mfma_f32_16x16x32_fp8_fp8 v[8:11], a[84:85], a[76:77], v[8:11]// 000000009D58: D3F30008 1C229954
	s_add_u32 s60, 0x100, s80                                  // 000000009D60: 803C50FF 00000100
	s_cmp_lt_u32 s60, s81                                      // 000000009D68: BF0A513C
	s_cselect_b32 s83, s83, 0                                  // 000000009D6C: 85538053
	s_cselect_b32 s4, s4, 0                                    // 000000009D70: 85048004
	v_mfma_f32_16x16x32_fp8_fp8 v[8:11], a[86:87], a[78:79], v[8:11]// 000000009D74: D3F30008 1C229D56
	s_add_u32 s24, s58, s24                                    // 000000009D7C: 8018183A
	s_addc_u32 s25, 0, s25                                     // 000000009D80: 82191980
	v_fma_f32 v136, v12, v6, v136                              // 000000009D84: D1CB0088 06220D0C
	v_fma_f32 v137, v13, v6, v137                              // 000000009D8C: D1CB0089 06260D0D
	v_fma_f32 v138, v14, v6, v138                              // 000000009D94: D1CB008A 062A0D0E
	v_fma_f32 v139, v15, v6, v139                              // 000000009D9C: D1CB008B 062E0D0F
	v_mfma_f32_16x16x32_fp8_fp8 v[12:15], a[88:89], a[72:73], 0// 000000009DA4: D3F3000C 1A029158
	s_add_u32 s20, s57, s20                                    // 000000009DAC: 80141439
	s_addc_u32 s21, 0, s21                                     // 000000009DB0: 82151580
	s_add_u32 s28, s3, s28                                     // 000000009DB4: 801C1C03
	s_addc_u32 s29, 0, s29                                     // 000000009DB8: 821D1D80
	v_mfma_f32_16x16x32_fp8_fp8 v[12:15], a[90:91], a[74:75], v[12:15]// 000000009DBC: D3F3000C 1C32955A
	s_add_u32 s84, s83, s84                                    // 000000009DC4: 80545453
	s_addc_u32 s85, 0, s85                                     // 000000009DC8: 82555580
	v_mfma_f32_16x16x32_fp8_fp8 v[12:15], a[92:93], a[76:77], v[12:15]// 000000009DCC: D3F3000C 1C32995C
	s_add_u32 s32, s4, s32                                     // 000000009DD4: 80202004
	s_addc_u32 s33, 0, s33                                     // 000000009DD8: 82212180
	v_mfma_f32_16x16x32_fp8_fp8 v[12:15], a[94:95], a[78:79], v[12:15]// 000000009DDC: D3F3000C 1C329D5E
	v_fma_f32 v120, v8, v4, v120                               // 000000009DE4: D1CB0078 05E20908
	v_fma_f32 v121, v9, v4, v121                               // 000000009DEC: D1CB0079 05E60909
	v_fma_f32 v122, v10, v4, v122                              // 000000009DF4: D1CB007A 05EA090A
	v_fma_f32 v123, v11, v4, v123                              // 000000009DFC: D1CB007B 05EE090B
	v_fma_f32 v140, v12, v4, v140                              // 000000009E04: D1CB008C 0632090C
	v_fma_f32 v141, v13, v4, v141                              // 000000009E0C: D1CB008D 0636090D
	v_fma_f32 v142, v14, v4, v142                              // 000000009E14: D1CB008E 063A090E
	v_fma_f32 v143, v15, v4, v143                              // 000000009E1C: D1CB008F 063E090F
	s_addk_i32 s80, 0x80                                       // 000000009E24: B7500080
	s_cmp_lt_i32 s80, s81                                      // 000000009E28: BF045150
	s_cbranch_scc0 label_243C                                  // 000000009E2C: BF84072D
	s_waitcnt vmcnt(20) lgkmcnt(0)                             // 000000009E30: BF8C4074
	v_mul_f32_dpp v4, v26, v45 row_newbcast:0 row_mask:0xf bank_mask:0xf// 000000009E34: 0A085AFA FF01501A
	v_mfma_f32_16x16x32_fp8_fp8 v[8:11], a[96:97], a[0:1], 0   // 000000009E3C: D3F30008 1A020160
	buffer_load_dword v24, v22, s[32:35], 0 offen              // 000000009E44: E0501000 80081816
	buffer_load_dwordx4 a[80:83], v60, s[24:27], 0 offen       // 000000009E4C: E05C1000 8086503C
	v_mfma_f32_16x16x32_fp8_fp8 v[8:11], a[98:99], a[2:3], v[8:11]// 000000009E54: D3F30008 1C220562
	v_mfma_f32_16x16x32_fp8_fp8 v[8:11], a[100:101], a[4:5], v[8:11]// 000000009E5C: D3F30008 1C220964
	v_mfma_f32_16x16x32_fp8_fp8 v[8:11], a[102:103], a[6:7], v[8:11]// 000000009E64: D3F30008 1C220D66
	v_mfma_f32_16x16x32_fp8_fp8 v[12:15], a[104:105], a[0:1], 0// 000000009E6C: D3F3000C 1A020168
	buffer_load_dwordx4 a[84:87], v60, s[24:27], 0 offen offset:1024// 000000009E74: E05C1400 8086543C
	v_mfma_f32_16x16x32_fp8_fp8 v[12:15], a[106:107], a[2:3], v[12:15]// 000000009E7C: D3F3000C 1C32056A
	v_mfma_f32_16x16x32_fp8_fp8 v[12:15], a[108:109], a[4:5], v[12:15]// 000000009E84: D3F3000C 1C32096C
	v_mfma_f32_16x16x32_fp8_fp8 v[12:15], a[110:111], a[6:7], v[12:15]// 000000009E8C: D3F3000C 1C320D6E
	v_fma_f32 v64, v8, v4, v64                                 // 000000009E94: D1CB0040 05020908
	v_fma_f32 v65, v9, v4, v65                                 // 000000009E9C: D1CB0041 05060909
	v_fma_f32 v66, v10, v4, v66                                // 000000009EA4: D1CB0042 050A090A
	v_fma_f32 v67, v11, v4, v67                                // 000000009EAC: D1CB0043 050E090B
	v_mul_f32_dpp v6, v26, v46 row_newbcast:0 row_mask:0xf bank_mask:0xf// 000000009EB4: 0A0C5CFA FF01501A
	v_mfma_f32_16x16x32_fp8_fp8 v[8:11], a[96:97], a[8:9], 0   // 000000009EBC: D3F30008 1A021160
	buffer_load_dwordx4 a[88:91], v61, s[24:27], 0 offen       // 000000009EC4: E05C1000 8086583D
	v_mfma_f32_16x16x32_fp8_fp8 v[8:11], a[98:99], a[10:11], v[8:11]// 000000009ECC: D3F30008 1C221562
	v_mfma_f32_16x16x32_fp8_fp8 v[8:11], a[100:101], a[12:13], v[8:11]// 000000009ED4: D3F30008 1C221964
	v_mfma_f32_16x16x32_fp8_fp8 v[8:11], a[102:103], a[14:15], v[8:11]// 000000009EDC: D3F30008 1C221D66
	v_fma_f32 v84, v12, v4, v84                                // 000000009EE4: D1CB0054 0552090C
	v_fma_f32 v85, v13, v4, v85                                // 000000009EEC: D1CB0055 0556090D
	v_fma_f32 v86, v14, v4, v86                                // 000000009EF4: D1CB0056 055A090E
	v_fma_f32 v87, v15, v4, v87                                // 000000009EFC: D1CB0057 055E090F
	v_mfma_f32_16x16x32_fp8_fp8 v[12:15], a[104:105], a[8:9], 0// 000000009F04: D3F3000C 1A021168
	buffer_load_dwordx4 a[92:95], v61, s[24:27], 0 offen offset:1024// 000000009F0C: E05C1400 80865C3D
	buffer_load_dword v50, s[20:23], 0 offen lds               // 000000009F14: E0511000 80050032
	s_add_u32 m0, 0x100, s49                                   // 000000009F1C: 807C31FF 00000100
	v_mfma_f32_16x16x32_fp8_fp8 v[12:15], a[106:107], a[10:11], v[12:15]// 000000009F24: D3F3000C 1C32156A
	v_mfma_f32_16x16x32_fp8_fp8 v[12:15], a[108:109], a[12:13], v[12:15]// 000000009F2C: D3F3000C 1C32196C
	buffer_load_dword v51, s[20:23], 0 offen lds               // 000000009F34: E0511000 80050033
	s_add_u32 m0, 0x200, s49                                   // 000000009F3C: 807C31FF 00000200
	v_mfma_f32_16x16x32_fp8_fp8 v[12:15], a[110:111], a[14:15], v[12:15]// 000000009F44: D3F3000C 1C321D6E
	v_fma_f32 v68, v8, v6, v68                                 // 000000009F4C: D1CB0044 05120D08
	v_fma_f32 v69, v9, v6, v69                                 // 000000009F54: D1CB0045 05160D09
	v_fma_f32 v70, v10, v6, v70                                // 000000009F5C: D1CB0046 051A0D0A
	v_fma_f32 v71, v11, v6, v71                                // 000000009F64: D1CB0047 051E0D0B
	v_mul_f32_dpp v4, v26, v47 row_newbcast:0 row_mask:0xf bank_mask:0xf// 000000009F6C: 0A085EFA FF01501A
	v_mfma_f32_16x16x32_fp8_fp8 v[8:11], a[96:97], a[16:17], 0 // 000000009F74: D3F30008 1A022160
	buffer_load_dword v52, s[20:23], 0 offen lds               // 000000009F7C: E0511000 80050034
	s_add_u32 m0, 0x300, s49                                   // 000000009F84: 807C31FF 00000300
	v_mfma_f32_16x16x32_fp8_fp8 v[8:11], a[98:99], a[18:19], v[8:11]// 000000009F8C: D3F30008 1C222562
	v_mfma_f32_16x16x32_fp8_fp8 v[8:11], a[100:101], a[20:21], v[8:11]// 000000009F94: D3F30008 1C222964
	buffer_load_dword v53, s[20:23], 0 offen lds               // 000000009F9C: E0511000 80050035
	s_add_u32 m0, 0x400, s49                                   // 000000009FA4: 807C31FF 00000400
	v_mfma_f32_16x16x32_fp8_fp8 v[8:11], a[102:103], a[22:23], v[8:11]// 000000009FAC: D3F30008 1C222D66
	v_fma_f32 v88, v12, v6, v88                                // 000000009FB4: D1CB0058 05620D0C
	v_fma_f32 v89, v13, v6, v89                                // 000000009FBC: D1CB0059 05660D0D
	v_fma_f32 v90, v14, v6, v90                                // 000000009FC4: D1CB005A 056A0D0E
	v_fma_f32 v91, v15, v6, v91                                // 000000009FCC: D1CB005B 056E0D0F
	v_mfma_f32_16x16x32_fp8_fp8 v[12:15], a[104:105], a[16:17], 0// 000000009FD4: D3F3000C 1A022168
	buffer_load_dword v54, s[20:23], 0 offen lds               // 000000009FDC: E0511000 80050036
	s_add_u32 m0, 0x500, s49                                   // 000000009FE4: 807C31FF 00000500
	v_mfma_f32_16x16x32_fp8_fp8 v[12:15], a[106:107], a[18:19], v[12:15]// 000000009FEC: D3F3000C 1C32256A
	v_mfma_f32_16x16x32_fp8_fp8 v[12:15], a[108:109], a[20:21], v[12:15]// 000000009FF4: D3F3000C 1C32296C
	buffer_load_dword v55, s[20:23], 0 offen lds               // 000000009FFC: E0511000 80050037
	s_add_u32 m0, 0x600, s49                                   // 00000000A004: 807C31FF 00000600
	v_mfma_f32_16x16x32_fp8_fp8 v[12:15], a[110:111], a[22:23], v[12:15]// 00000000A00C: D3F3000C 1C322D6E
	v_fma_f32 v72, v8, v4, v72                                 // 00000000A014: D1CB0048 05220908
	v_fma_f32 v73, v9, v4, v73                                 // 00000000A01C: D1CB0049 05260909
	v_fma_f32 v74, v10, v4, v74                                // 00000000A024: D1CB004A 052A090A
	v_fma_f32 v75, v11, v4, v75                                // 00000000A02C: D1CB004B 052E090B
	v_mul_f32_dpp v6, v26, v48 row_newbcast:0 row_mask:0xf bank_mask:0xf// 00000000A034: 0A0C60FA FF01501A
	v_mfma_f32_16x16x32_fp8_fp8 v[8:11], a[96:97], a[24:25], 0 // 00000000A03C: D3F30008 1A023160
	buffer_load_dword v56, s[20:23], 0 offen lds               // 00000000A044: E0511000 80050038
	s_add_u32 m0, 0x700, s49                                   // 00000000A04C: 807C31FF 00000700
	v_mfma_f32_16x16x32_fp8_fp8 v[8:11], a[98:99], a[26:27], v[8:11]// 00000000A054: D3F30008 1C223562
	v_mfma_f32_16x16x32_fp8_fp8 v[8:11], a[100:101], a[28:29], v[8:11]// 00000000A05C: D3F30008 1C223964
	buffer_load_dword v57, s[20:23], 0 offen lds               // 00000000A064: E0511000 80050039
	s_add_u32 m0, 0x800, s49                                   // 00000000A06C: 807C31FF 00000800
	v_mfma_f32_16x16x32_fp8_fp8 v[8:11], a[102:103], a[30:31], v[8:11]// 00000000A074: D3F30008 1C223D66
	v_fma_f32 v92, v12, v4, v92                                // 00000000A07C: D1CB005C 0572090C
	v_fma_f32 v93, v13, v4, v93                                // 00000000A084: D1CB005D 0576090D
	v_fma_f32 v94, v14, v4, v94                                // 00000000A08C: D1CB005E 057A090E
	v_fma_f32 v95, v15, v4, v95                                // 00000000A094: D1CB005F 057E090F
	v_mfma_f32_16x16x32_fp8_fp8 v[12:15], a[104:105], a[24:25], 0// 00000000A09C: D3F3000C 1A023168
	buffer_load_dword v58, s[20:23], 0 offen lds               // 00000000A0A4: E0511000 8005003A
	s_add_u32 m0, 0x900, s49                                   // 00000000A0AC: 807C31FF 00000900
	v_mfma_f32_16x16x32_fp8_fp8 v[12:15], a[106:107], a[26:27], v[12:15]// 00000000A0B4: D3F3000C 1C32356A
	v_mfma_f32_16x16x32_fp8_fp8 v[12:15], a[108:109], a[28:29], v[12:15]// 00000000A0BC: D3F3000C 1C32396C
	buffer_load_dword v59, s[20:23], 0 offen lds               // 00000000A0C4: E0511000 8005003B
	s_add_u32 m0, 0, s50                                       // 00000000A0CC: 807C3280
	v_mfma_f32_16x16x32_fp8_fp8 v[12:15], a[110:111], a[30:31], v[12:15]// 00000000A0D0: D3F3000C 1C323D6E
	v_fma_f32 v76, v8, v6, v76                                 // 00000000A0D8: D1CB004C 05320D08
	v_fma_f32 v77, v9, v6, v77                                 // 00000000A0E0: D1CB004D 05360D09
	v_fma_f32 v78, v10, v6, v78                                // 00000000A0E8: D1CB004E 053A0D0A
	v_fma_f32 v79, v11, v6, v79                                // 00000000A0F0: D1CB004F 053E0D0B
	v_mul_f32_dpp v4, v26, v49 row_newbcast:0 row_mask:0xf bank_mask:0xf// 00000000A0F8: 0A0862FA FF01501A
	v_mfma_f32_16x16x32_fp8_fp8 v[8:11], a[96:97], a[32:33], 0 // 00000000A100: D3F30008 1A024160
	buffer_load_dword v40, v30, s[28:31], 0 offen              // 00000000A108: E0501000 8007281E
	v_mfma_f32_16x16x32_fp8_fp8 v[8:11], a[98:99], a[34:35], v[8:11]// 00000000A110: D3F30008 1C224562
	v_mfma_f32_16x16x32_fp8_fp8 v[8:11], a[100:101], a[36:37], v[8:11]// 00000000A118: D3F30008 1C224964
	buffer_load_dword v41, v31, s[28:31], 0 offen              // 00000000A120: E0501000 8007291F
	v_mfma_f32_16x16x32_fp8_fp8 v[8:11], a[102:103], a[38:39], v[8:11]// 00000000A128: D3F30008 1C224D66
	v_fma_f32 v96, v12, v6, v96                                // 00000000A130: D1CB0060 05820D0C
	v_fma_f32 v97, v13, v6, v97                                // 00000000A138: D1CB0061 05860D0D
	v_fma_f32 v98, v14, v6, v98                                // 00000000A140: D1CB0062 058A0D0E
	v_fma_f32 v99, v15, v6, v99                                // 00000000A148: D1CB0063 058E0D0F
	v_mfma_f32_16x16x32_fp8_fp8 v[12:15], a[104:105], a[32:33], 0// 00000000A150: D3F3000C 1A024168
	buffer_load_dword v42, v32, s[28:31], 0 offen              // 00000000A158: E0501000 80072A20
	v_mfma_f32_16x16x32_fp8_fp8 v[12:15], a[106:107], a[34:35], v[12:15]// 00000000A160: D3F3000C 1C32456A
	v_mfma_f32_16x16x32_fp8_fp8 v[12:15], a[108:109], a[36:37], v[12:15]// 00000000A168: D3F3000C 1C32496C
	buffer_load_dword v43, v33, s[28:31], 0 offen              // 00000000A170: E0501000 80072B21
	v_mfma_f32_16x16x32_fp8_fp8 v[12:15], a[110:111], a[38:39], v[12:15]// 00000000A178: D3F3000C 1C324D6E
	v_fma_f32 v80, v8, v4, v80                                 // 00000000A180: D1CB0050 05420908
	v_fma_f32 v81, v9, v4, v81                                 // 00000000A188: D1CB0051 05460909
	v_fma_f32 v82, v10, v4, v82                                // 00000000A190: D1CB0052 054A090A
	v_fma_f32 v83, v11, v4, v83                                // 00000000A198: D1CB0053 054E090B
	v_fma_f32 v100, v12, v4, v100                              // 00000000A1A0: D1CB0064 0592090C
	v_fma_f32 v101, v13, v4, v101                              // 00000000A1A8: D1CB0065 0596090D
	v_fma_f32 v102, v14, v4, v102                              // 00000000A1B0: D1CB0066 059A090E
	v_fma_f32 v103, v15, v4, v103                              // 00000000A1B8: D1CB0067 059E090F
	buffer_load_dword v44, v34, s[28:31], 0 offen              // 00000000A1C0: E0501000 80072C22
	s_waitcnt vmcnt(20)                                        // 00000000A1C8: BF8C4F74
	s_barrier                                                  // 00000000A1CC: BF8A0000
	v_mul_f32_dpp v4, v29, v45 row_newbcast:0 row_mask:0xf bank_mask:0xf// 00000000A1D0: 0A085AFA FF01501D
	v_mfma_f32_16x16x32_fp8_fp8 v[8:11], a[112:113], a[0:1], 0 // 00000000A1D8: D3F30008 1A020170
	buffer_load_dword v27, v23, s[32:35], 0 offen              // 00000000A1E0: E0501000 80081B17
	buffer_load_dwordx4 a[96:99], v60, s[84:87], 0 offen       // 00000000A1E8: E05C1000 8095603C
	v_mfma_f32_16x16x32_fp8_fp8 v[8:11], a[114:115], a[2:3], v[8:11]// 00000000A1F0: D3F30008 1C220572
	v_mfma_f32_16x16x32_fp8_fp8 v[8:11], a[116:117], a[4:5], v[8:11]// 00000000A1F8: D3F30008 1C220974
	ds_read_b128 a[40:43], v2                                  // 00000000A200: DBFE0000 28000002
	ds_read_b128 a[44:47], v2 offset:64                        // 00000000A208: DBFE0040 2C000002
	v_mfma_f32_16x16x32_fp8_fp8 v[8:11], a[118:119], a[6:7], v[8:11]// 00000000A210: D3F30008 1C220D76
	v_mfma_f32_16x16x32_fp8_fp8 v[12:15], a[120:121], a[0:1], 0// 00000000A218: D3F3000C 1A020178
	buffer_load_dwordx4 a[100:103], v60, s[84:87], 0 offen offset:1024// 00000000A220: E05C1400 8095643C
	v_mfma_f32_16x16x32_fp8_fp8 v[12:15], a[122:123], a[2:3], v[12:15]// 00000000A228: D3F3000C 1C32057A
	v_mfma_f32_16x16x32_fp8_fp8 v[12:15], a[124:125], a[4:5], v[12:15]// 00000000A230: D3F3000C 1C32097C
	ds_read_b128 a[48:51], v2 offset:512                       // 00000000A238: DBFE0200 30000002
	ds_read_b128 a[52:55], v2 offset:576                       // 00000000A240: DBFE0240 34000002
	v_mfma_f32_16x16x32_fp8_fp8 v[12:15], a[126:127], a[6:7], v[12:15]// 00000000A248: D3F3000C 1C320D7E
	v_fma_f32 v104, v8, v4, v104                               // 00000000A250: D1CB0068 05A20908
	v_fma_f32 v105, v9, v4, v105                               // 00000000A258: D1CB0069 05A60909
	v_fma_f32 v106, v10, v4, v106                              // 00000000A260: D1CB006A 05AA090A
	v_fma_f32 v107, v11, v4, v107                              // 00000000A268: D1CB006B 05AE090B
	v_mul_f32_dpp v6, v29, v46 row_newbcast:0 row_mask:0xf bank_mask:0xf// 00000000A270: 0A0C5CFA FF01501D
	v_mfma_f32_16x16x32_fp8_fp8 v[8:11], a[112:113], a[8:9], 0 // 00000000A278: D3F30008 1A021170
	buffer_load_dwordx4 a[104:107], v61, s[84:87], 0 offen     // 00000000A280: E05C1000 8095683D
	v_mfma_f32_16x16x32_fp8_fp8 v[8:11], a[114:115], a[10:11], v[8:11]// 00000000A288: D3F30008 1C221572
	v_mfma_f32_16x16x32_fp8_fp8 v[8:11], a[116:117], a[12:13], v[8:11]// 00000000A290: D3F30008 1C221974
	ds_read_b128 a[56:59], v2 offset:1024                      // 00000000A298: DBFE0400 38000002
	ds_read_b128 a[60:63], v2 offset:1088                      // 00000000A2A0: DBFE0440 3C000002
	v_mfma_f32_16x16x32_fp8_fp8 v[8:11], a[118:119], a[14:15], v[8:11]// 00000000A2A8: D3F30008 1C221D76
	v_fma_f32 v124, v12, v4, v124                              // 00000000A2B0: D1CB007C 05F2090C
	v_fma_f32 v125, v13, v4, v125                              // 00000000A2B8: D1CB007D 05F6090D
	v_fma_f32 v126, v14, v4, v126                              // 00000000A2C0: D1CB007E 05FA090E
	v_fma_f32 v127, v15, v4, v127                              // 00000000A2C8: D1CB007F 05FE090F
	v_mfma_f32_16x16x32_fp8_fp8 v[12:15], a[120:121], a[8:9], 0// 00000000A2D0: D3F3000C 1A021178
	buffer_load_dwordx4 a[108:111], v61, s[84:87], 0 offen offset:1024// 00000000A2D8: E05C1400 80956C3D
	v_mfma_f32_16x16x32_fp8_fp8 v[12:15], a[122:123], a[10:11], v[12:15]// 00000000A2E0: D3F3000C 1C32157A
	v_mfma_f32_16x16x32_fp8_fp8 v[12:15], a[124:125], a[12:13], v[12:15]// 00000000A2E8: D3F3000C 1C32197C
	ds_read_b128 a[64:67], v2 offset:1536                      // 00000000A2F0: DBFE0600 40000002
	ds_read_b128 a[68:71], v2 offset:1600                      // 00000000A2F8: DBFE0640 44000002
	v_mfma_f32_16x16x32_fp8_fp8 v[12:15], a[126:127], a[14:15], v[12:15]// 00000000A300: D3F3000C 1C321D7E
	v_fma_f32 v108, v8, v6, v108                               // 00000000A308: D1CB006C 05B20D08
	v_fma_f32 v109, v9, v6, v109                               // 00000000A310: D1CB006D 05B60D09
	v_fma_f32 v110, v10, v6, v110                              // 00000000A318: D1CB006E 05BA0D0A
	v_fma_f32 v111, v11, v6, v111                              // 00000000A320: D1CB006F 05BE0D0B
	v_mul_f32_dpp v4, v29, v47 row_newbcast:0 row_mask:0xf bank_mask:0xf// 00000000A328: 0A085EFA FF01501D
	v_mfma_f32_16x16x32_fp8_fp8 v[8:11], a[112:113], a[16:17], 0// 00000000A330: D3F30008 1A022170
	v_mfma_f32_16x16x32_fp8_fp8 v[8:11], a[114:115], a[18:19], v[8:11]// 00000000A338: D3F30008 1C222572
	v_mfma_f32_16x16x32_fp8_fp8 v[8:11], a[116:117], a[20:21], v[8:11]// 00000000A340: D3F30008 1C222974
	ds_read_b128 a[72:75], v2 offset:2048                      // 00000000A348: DBFE0800 48000002
	ds_read_b128 a[76:79], v2 offset:2112                      // 00000000A350: DBFE0840 4C000002
	v_mfma_f32_16x16x32_fp8_fp8 v[8:11], a[118:119], a[22:23], v[8:11]// 00000000A358: D3F30008 1C222D76
	v_fma_f32 v128, v12, v6, v128                              // 00000000A360: D1CB0080 06020D0C
	v_fma_f32 v129, v13, v6, v129                              // 00000000A368: D1CB0081 06060D0D
	v_fma_f32 v130, v14, v6, v130                              // 00000000A370: D1CB0082 060A0D0E
	v_fma_f32 v131, v15, v6, v131                              // 00000000A378: D1CB0083 060E0D0F
	v_mfma_f32_16x16x32_fp8_fp8 v[12:15], a[120:121], a[16:17], 0// 00000000A380: D3F3000C 1A022178
	v_mfma_f32_16x16x32_fp8_fp8 v[12:15], a[122:123], a[18:19], v[12:15]// 00000000A388: D3F3000C 1C32257A
	v_mfma_f32_16x16x32_fp8_fp8 v[12:15], a[124:125], a[20:21], v[12:15]// 00000000A390: D3F3000C 1C32297C
	v_mfma_f32_16x16x32_fp8_fp8 v[12:15], a[126:127], a[22:23], v[12:15]// 00000000A398: D3F3000C 1C322D7E
	v_fma_f32 v112, v8, v4, v112                               // 00000000A3A0: D1CB0070 05C20908
	v_fma_f32 v113, v9, v4, v113                               // 00000000A3A8: D1CB0071 05C60909
	v_fma_f32 v114, v10, v4, v114                              // 00000000A3B0: D1CB0072 05CA090A
	v_fma_f32 v115, v11, v4, v115                              // 00000000A3B8: D1CB0073 05CE090B
	v_mul_f32_dpp v6, v29, v48 row_newbcast:0 row_mask:0xf bank_mask:0xf// 00000000A3C0: 0A0C60FA FF01501D
	v_mfma_f32_16x16x32_fp8_fp8 v[8:11], a[112:113], a[24:25], 0// 00000000A3C8: D3F30008 1A023170
	v_mfma_f32_16x16x32_fp8_fp8 v[8:11], a[114:115], a[26:27], v[8:11]// 00000000A3D0: D3F30008 1C223572
	v_mfma_f32_16x16x32_fp8_fp8 v[8:11], a[116:117], a[28:29], v[8:11]// 00000000A3D8: D3F30008 1C223974
	v_mfma_f32_16x16x32_fp8_fp8 v[8:11], a[118:119], a[30:31], v[8:11]// 00000000A3E0: D3F30008 1C223D76
	v_fma_f32 v132, v12, v4, v132                              // 00000000A3E8: D1CB0084 0612090C
	v_fma_f32 v133, v13, v4, v133                              // 00000000A3F0: D1CB0085 0616090D
	v_fma_f32 v134, v14, v4, v134                              // 00000000A3F8: D1CB0086 061A090E
	v_fma_f32 v135, v15, v4, v135                              // 00000000A400: D1CB0087 061E090F
	v_mfma_f32_16x16x32_fp8_fp8 v[12:15], a[120:121], a[24:25], 0// 00000000A408: D3F3000C 1A023178
	v_mfma_f32_16x16x32_fp8_fp8 v[12:15], a[122:123], a[26:27], v[12:15]// 00000000A410: D3F3000C 1C32357A
	v_mfma_f32_16x16x32_fp8_fp8 v[12:15], a[124:125], a[28:29], v[12:15]// 00000000A418: D3F3000C 1C32397C
	v_mfma_f32_16x16x32_fp8_fp8 v[12:15], a[126:127], a[30:31], v[12:15]// 00000000A420: D3F3000C 1C323D7E
	v_fma_f32 v116, v8, v6, v116                               // 00000000A428: D1CB0074 05D20D08
	v_fma_f32 v117, v9, v6, v117                               // 00000000A430: D1CB0075 05D60D09
	v_fma_f32 v118, v10, v6, v118                              // 00000000A438: D1CB0076 05DA0D0A
	v_fma_f32 v119, v11, v6, v119                              // 00000000A440: D1CB0077 05DE0D0B
	v_mul_f32_dpp v4, v29, v49 row_newbcast:0 row_mask:0xf bank_mask:0xf// 00000000A448: 0A0862FA FF01501D
	v_mfma_f32_16x16x32_fp8_fp8 v[8:11], a[112:113], a[32:33], 0// 00000000A450: D3F30008 1A024170
	s_add_u32 s60, 0x180, s80                                  // 00000000A458: 803C50FF 00000180
	s_cmp_lt_u32 s60, s81                                      // 00000000A460: BF0A513C
	s_cselect_b32 s57, s57, 0                                  // 00000000A464: 85398039
	s_cselect_b32 s3, s3, 0                                    // 00000000A468: 85038003
	v_mfma_f32_16x16x32_fp8_fp8 v[8:11], a[114:115], a[34:35], v[8:11]// 00000000A46C: D3F30008 1C224572
	s_add_u32 s60, 0x100, s80                                  // 00000000A474: 803C50FF 00000100
	s_cmp_lt_u32 s60, s81                                      // 00000000A47C: BF0A513C
	s_cselect_b32 s58, s58, 0                                  // 00000000A480: 853A803A
	v_mfma_f32_16x16x32_fp8_fp8 v[8:11], a[116:117], a[36:37], v[8:11]// 00000000A484: D3F30008 1C224974
	s_add_u32 s60, 0x100, s80                                  // 00000000A48C: 803C50FF 00000100
	s_cmp_lt_u32 s60, s81                                      // 00000000A494: BF0A513C
	s_cselect_b32 s83, s83, 0                                  // 00000000A498: 85538053
	s_cselect_b32 s4, s4, 0                                    // 00000000A49C: 85048004
	v_mfma_f32_16x16x32_fp8_fp8 v[8:11], a[118:119], a[38:39], v[8:11]// 00000000A4A0: D3F30008 1C224D76
	s_add_u32 s24, s58, s24                                    // 00000000A4A8: 8018183A
	s_addc_u32 s25, 0, s25                                     // 00000000A4AC: 82191980
	v_fma_f32 v136, v12, v6, v136                              // 00000000A4B0: D1CB0088 06220D0C
	v_fma_f32 v137, v13, v6, v137                              // 00000000A4B8: D1CB0089 06260D0D
	v_fma_f32 v138, v14, v6, v138                              // 00000000A4C0: D1CB008A 062A0D0E
	v_fma_f32 v139, v15, v6, v139                              // 00000000A4C8: D1CB008B 062E0D0F
	v_mfma_f32_16x16x32_fp8_fp8 v[12:15], a[120:121], a[32:33], 0// 00000000A4D0: D3F3000C 1A024178
	s_add_u32 s20, s57, s20                                    // 00000000A4D8: 80141439
	s_addc_u32 s21, 0, s21                                     // 00000000A4DC: 82151580
	s_add_u32 s28, s3, s28                                     // 00000000A4E0: 801C1C03
	s_addc_u32 s29, 0, s29                                     // 00000000A4E4: 821D1D80
	v_mfma_f32_16x16x32_fp8_fp8 v[12:15], a[122:123], a[34:35], v[12:15]// 00000000A4E8: D3F3000C 1C32457A
	s_add_u32 s84, s83, s84                                    // 00000000A4F0: 80545453
	s_addc_u32 s85, 0, s85                                     // 00000000A4F4: 82555580
	v_mfma_f32_16x16x32_fp8_fp8 v[12:15], a[124:125], a[36:37], v[12:15]// 00000000A4F8: D3F3000C 1C32497C
	s_add_u32 s32, s4, s32                                     // 00000000A500: 80202004
	s_addc_u32 s33, 0, s33                                     // 00000000A504: 82212180
	v_mfma_f32_16x16x32_fp8_fp8 v[12:15], a[126:127], a[38:39], v[12:15]// 00000000A508: D3F3000C 1C324D7E
	v_fma_f32 v120, v8, v4, v120                               // 00000000A510: D1CB0078 05E20908
	v_fma_f32 v121, v9, v4, v121                               // 00000000A518: D1CB0079 05E60909
	v_fma_f32 v122, v10, v4, v122                              // 00000000A520: D1CB007A 05EA090A
	v_fma_f32 v123, v11, v4, v123                              // 00000000A528: D1CB007B 05EE090B
	v_fma_f32 v140, v12, v4, v140                              // 00000000A530: D1CB008C 0632090C
	v_fma_f32 v141, v13, v4, v141                              // 00000000A538: D1CB008D 0636090D
	v_fma_f32 v142, v14, v4, v142                              // 00000000A540: D1CB008E 063A090E
	v_fma_f32 v143, v15, v4, v143                              // 00000000A548: D1CB008F 063E090F
	s_addk_i32 s80, 0x80                                       // 00000000A550: B7500080
	s_cmp_lt_i32 s80, s81                                      // 00000000A554: BF045150
	s_cbranch_scc0 label_243C                                  // 00000000A558: BF840562
	s_waitcnt vmcnt(20) lgkmcnt(0)                             // 00000000A55C: BF8C4074
	v_mul_f32_dpp v4, v24, v35 row_newbcast:0 row_mask:0xf bank_mask:0xf// 00000000A560: 0A0846FA FF015018
	v_mfma_f32_16x16x32_fp8_fp8 v[8:11], a[80:81], a[40:41], 0 // 00000000A568: D3F30008 1A025150
	buffer_load_dword v25, v22, s[32:35], 0 offen              // 00000000A570: E0501000 80081916
	buffer_load_dwordx4 a[112:115], v60, s[24:27], 0 offen     // 00000000A578: E05C1000 8086703C
	v_mfma_f32_16x16x32_fp8_fp8 v[8:11], a[82:83], a[42:43], v[8:11]// 00000000A580: D3F30008 1C225552
	v_mfma_f32_16x16x32_fp8_fp8 v[8:11], a[84:85], a[44:45], v[8:11]// 00000000A588: D3F30008 1C225954
	v_mfma_f32_16x16x32_fp8_fp8 v[8:11], a[86:87], a[46:47], v[8:11]// 00000000A590: D3F30008 1C225D56
	v_mfma_f32_16x16x32_fp8_fp8 v[12:15], a[88:89], a[40:41], 0// 00000000A598: D3F3000C 1A025158
	buffer_load_dwordx4 a[116:119], v60, s[24:27], 0 offen offset:1024// 00000000A5A0: E05C1400 8086743C
	v_mfma_f32_16x16x32_fp8_fp8 v[12:15], a[90:91], a[42:43], v[12:15]// 00000000A5A8: D3F3000C 1C32555A
	v_mfma_f32_16x16x32_fp8_fp8 v[12:15], a[92:93], a[44:45], v[12:15]// 00000000A5B0: D3F3000C 1C32595C
	v_mfma_f32_16x16x32_fp8_fp8 v[12:15], a[94:95], a[46:47], v[12:15]// 00000000A5B8: D3F3000C 1C325D5E
	v_fma_f32 v64, v8, v4, v64                                 // 00000000A5C0: D1CB0040 05020908
	v_fma_f32 v65, v9, v4, v65                                 // 00000000A5C8: D1CB0041 05060909
	v_fma_f32 v66, v10, v4, v66                                // 00000000A5D0: D1CB0042 050A090A
	v_fma_f32 v67, v11, v4, v67                                // 00000000A5D8: D1CB0043 050E090B
	v_mul_f32_dpp v6, v24, v36 row_newbcast:0 row_mask:0xf bank_mask:0xf// 00000000A5E0: 0A0C48FA FF015018
	v_mfma_f32_16x16x32_fp8_fp8 v[8:11], a[80:81], a[48:49], 0 // 00000000A5E8: D3F30008 1A026150
	buffer_load_dwordx4 a[120:123], v61, s[24:27], 0 offen     // 00000000A5F0: E05C1000 8086783D
	v_mfma_f32_16x16x32_fp8_fp8 v[8:11], a[82:83], a[50:51], v[8:11]// 00000000A5F8: D3F30008 1C226552
	v_mfma_f32_16x16x32_fp8_fp8 v[8:11], a[84:85], a[52:53], v[8:11]// 00000000A600: D3F30008 1C226954
	v_mfma_f32_16x16x32_fp8_fp8 v[8:11], a[86:87], a[54:55], v[8:11]// 00000000A608: D3F30008 1C226D56
	v_fma_f32 v84, v12, v4, v84                                // 00000000A610: D1CB0054 0552090C
	v_fma_f32 v85, v13, v4, v85                                // 00000000A618: D1CB0055 0556090D
	v_fma_f32 v86, v14, v4, v86                                // 00000000A620: D1CB0056 055A090E
	v_fma_f32 v87, v15, v4, v87                                // 00000000A628: D1CB0057 055E090F
	v_mfma_f32_16x16x32_fp8_fp8 v[12:15], a[88:89], a[48:49], 0// 00000000A630: D3F3000C 1A026158
	buffer_load_dwordx4 a[124:127], v61, s[24:27], 0 offen offset:1024// 00000000A638: E05C1400 80867C3D
	buffer_load_dword v50, s[20:23], 0 offen lds               // 00000000A640: E0511000 80050032
	s_add_u32 m0, 0x100, s50                                   // 00000000A648: 807C32FF 00000100
	v_mfma_f32_16x16x32_fp8_fp8 v[12:15], a[90:91], a[50:51], v[12:15]// 00000000A650: D3F3000C 1C32655A
	v_mfma_f32_16x16x32_fp8_fp8 v[12:15], a[92:93], a[52:53], v[12:15]// 00000000A658: D3F3000C 1C32695C
	buffer_load_dword v51, s[20:23], 0 offen lds               // 00000000A660: E0511000 80050033
	s_add_u32 m0, 0x200, s50                                   // 00000000A668: 807C32FF 00000200
	v_mfma_f32_16x16x32_fp8_fp8 v[12:15], a[94:95], a[54:55], v[12:15]// 00000000A670: D3F3000C 1C326D5E
	v_fma_f32 v68, v8, v6, v68                                 // 00000000A678: D1CB0044 05120D08
	v_fma_f32 v69, v9, v6, v69                                 // 00000000A680: D1CB0045 05160D09
	v_fma_f32 v70, v10, v6, v70                                // 00000000A688: D1CB0046 051A0D0A
	v_fma_f32 v71, v11, v6, v71                                // 00000000A690: D1CB0047 051E0D0B
	v_mul_f32_dpp v4, v24, v37 row_newbcast:0 row_mask:0xf bank_mask:0xf// 00000000A698: 0A084AFA FF015018
	v_mfma_f32_16x16x32_fp8_fp8 v[8:11], a[80:81], a[56:57], 0 // 00000000A6A0: D3F30008 1A027150
	buffer_load_dword v52, s[20:23], 0 offen lds               // 00000000A6A8: E0511000 80050034
	s_add_u32 m0, 0x300, s50                                   // 00000000A6B0: 807C32FF 00000300
	v_mfma_f32_16x16x32_fp8_fp8 v[8:11], a[82:83], a[58:59], v[8:11]// 00000000A6B8: D3F30008 1C227552
	v_mfma_f32_16x16x32_fp8_fp8 v[8:11], a[84:85], a[60:61], v[8:11]// 00000000A6C0: D3F30008 1C227954
	buffer_load_dword v53, s[20:23], 0 offen lds               // 00000000A6C8: E0511000 80050035
	s_add_u32 m0, 0x400, s50                                   // 00000000A6D0: 807C32FF 00000400
	v_mfma_f32_16x16x32_fp8_fp8 v[8:11], a[86:87], a[62:63], v[8:11]// 00000000A6D8: D3F30008 1C227D56
	v_fma_f32 v88, v12, v6, v88                                // 00000000A6E0: D1CB0058 05620D0C
	v_fma_f32 v89, v13, v6, v89                                // 00000000A6E8: D1CB0059 05660D0D
	v_fma_f32 v90, v14, v6, v90                                // 00000000A6F0: D1CB005A 056A0D0E
	v_fma_f32 v91, v15, v6, v91                                // 00000000A6F8: D1CB005B 056E0D0F
	v_mfma_f32_16x16x32_fp8_fp8 v[12:15], a[88:89], a[56:57], 0// 00000000A700: D3F3000C 1A027158
	buffer_load_dword v54, s[20:23], 0 offen lds               // 00000000A708: E0511000 80050036
	s_add_u32 m0, 0x500, s50                                   // 00000000A710: 807C32FF 00000500
	v_mfma_f32_16x16x32_fp8_fp8 v[12:15], a[90:91], a[58:59], v[12:15]// 00000000A718: D3F3000C 1C32755A
	v_mfma_f32_16x16x32_fp8_fp8 v[12:15], a[92:93], a[60:61], v[12:15]// 00000000A720: D3F3000C 1C32795C
	buffer_load_dword v55, s[20:23], 0 offen lds               // 00000000A728: E0511000 80050037
	s_add_u32 m0, 0x600, s50                                   // 00000000A730: 807C32FF 00000600
	v_mfma_f32_16x16x32_fp8_fp8 v[12:15], a[94:95], a[62:63], v[12:15]// 00000000A738: D3F3000C 1C327D5E
	v_fma_f32 v72, v8, v4, v72                                 // 00000000A740: D1CB0048 05220908
	v_fma_f32 v73, v9, v4, v73                                 // 00000000A748: D1CB0049 05260909
	v_fma_f32 v74, v10, v4, v74                                // 00000000A750: D1CB004A 052A090A
	v_fma_f32 v75, v11, v4, v75                                // 00000000A758: D1CB004B 052E090B
	v_mul_f32_dpp v6, v24, v38 row_newbcast:0 row_mask:0xf bank_mask:0xf// 00000000A760: 0A0C4CFA FF015018
	v_mfma_f32_16x16x32_fp8_fp8 v[8:11], a[80:81], a[64:65], 0 // 00000000A768: D3F30008 1A028150
	buffer_load_dword v56, s[20:23], 0 offen lds               // 00000000A770: E0511000 80050038
	s_add_u32 m0, 0x700, s50                                   // 00000000A778: 807C32FF 00000700
	v_mfma_f32_16x16x32_fp8_fp8 v[8:11], a[82:83], a[66:67], v[8:11]// 00000000A780: D3F30008 1C228552
	v_mfma_f32_16x16x32_fp8_fp8 v[8:11], a[84:85], a[68:69], v[8:11]// 00000000A788: D3F30008 1C228954
	buffer_load_dword v57, s[20:23], 0 offen lds               // 00000000A790: E0511000 80050039
	s_add_u32 m0, 0x800, s50                                   // 00000000A798: 807C32FF 00000800
	v_mfma_f32_16x16x32_fp8_fp8 v[8:11], a[86:87], a[70:71], v[8:11]// 00000000A7A0: D3F30008 1C228D56
	v_fma_f32 v92, v12, v4, v92                                // 00000000A7A8: D1CB005C 0572090C
	v_fma_f32 v93, v13, v4, v93                                // 00000000A7B0: D1CB005D 0576090D
	v_fma_f32 v94, v14, v4, v94                                // 00000000A7B8: D1CB005E 057A090E
	v_fma_f32 v95, v15, v4, v95                                // 00000000A7C0: D1CB005F 057E090F
	v_mfma_f32_16x16x32_fp8_fp8 v[12:15], a[88:89], a[64:65], 0// 00000000A7C8: D3F3000C 1A028158
	buffer_load_dword v58, s[20:23], 0 offen lds               // 00000000A7D0: E0511000 8005003A
	s_add_u32 m0, 0x900, s50                                   // 00000000A7D8: 807C32FF 00000900
	v_mfma_f32_16x16x32_fp8_fp8 v[12:15], a[90:91], a[66:67], v[12:15]// 00000000A7E0: D3F3000C 1C32855A
	v_mfma_f32_16x16x32_fp8_fp8 v[12:15], a[92:93], a[68:69], v[12:15]// 00000000A7E8: D3F3000C 1C32895C
	buffer_load_dword v59, s[20:23], 0 offen lds               // 00000000A7F0: E0511000 8005003B
	s_add_u32 m0, 0, s48                                       // 00000000A7F8: 807C3080
	v_mfma_f32_16x16x32_fp8_fp8 v[12:15], a[94:95], a[70:71], v[12:15]// 00000000A7FC: D3F3000C 1C328D5E
	v_fma_f32 v76, v8, v6, v76                                 // 00000000A804: D1CB004C 05320D08
	v_fma_f32 v77, v9, v6, v77                                 // 00000000A80C: D1CB004D 05360D09
	v_fma_f32 v78, v10, v6, v78                                // 00000000A814: D1CB004E 053A0D0A
	v_fma_f32 v79, v11, v6, v79                                // 00000000A81C: D1CB004F 053E0D0B
	v_mul_f32_dpp v4, v24, v39 row_newbcast:0 row_mask:0xf bank_mask:0xf// 00000000A824: 0A084EFA FF015018
	v_mfma_f32_16x16x32_fp8_fp8 v[8:11], a[80:81], a[72:73], 0 // 00000000A82C: D3F30008 1A029150
	buffer_load_dword v45, v30, s[28:31], 0 offen              // 00000000A834: E0501000 80072D1E
	v_mfma_f32_16x16x32_fp8_fp8 v[8:11], a[82:83], a[74:75], v[8:11]// 00000000A83C: D3F30008 1C229552
	v_mfma_f32_16x16x32_fp8_fp8 v[8:11], a[84:85], a[76:77], v[8:11]// 00000000A844: D3F30008 1C229954
	buffer_load_dword v46, v31, s[28:31], 0 offen              // 00000000A84C: E0501000 80072E1F
	v_mfma_f32_16x16x32_fp8_fp8 v[8:11], a[86:87], a[78:79], v[8:11]// 00000000A854: D3F30008 1C229D56
	v_fma_f32 v96, v12, v6, v96                                // 00000000A85C: D1CB0060 05820D0C
	v_fma_f32 v97, v13, v6, v97                                // 00000000A864: D1CB0061 05860D0D
	v_fma_f32 v98, v14, v6, v98                                // 00000000A86C: D1CB0062 058A0D0E
	v_fma_f32 v99, v15, v6, v99                                // 00000000A874: D1CB0063 058E0D0F
	v_mfma_f32_16x16x32_fp8_fp8 v[12:15], a[88:89], a[72:73], 0// 00000000A87C: D3F3000C 1A029158
	buffer_load_dword v47, v32, s[28:31], 0 offen              // 00000000A884: E0501000 80072F20
	v_mfma_f32_16x16x32_fp8_fp8 v[12:15], a[90:91], a[74:75], v[12:15]// 00000000A88C: D3F3000C 1C32955A
	v_mfma_f32_16x16x32_fp8_fp8 v[12:15], a[92:93], a[76:77], v[12:15]// 00000000A894: D3F3000C 1C32995C
	buffer_load_dword v48, v33, s[28:31], 0 offen              // 00000000A89C: E0501000 80073021
	v_mfma_f32_16x16x32_fp8_fp8 v[12:15], a[94:95], a[78:79], v[12:15]// 00000000A8A4: D3F3000C 1C329D5E
	v_fma_f32 v80, v8, v4, v80                                 // 00000000A8AC: D1CB0050 05420908
	v_fma_f32 v81, v9, v4, v81                                 // 00000000A8B4: D1CB0051 05460909
	v_fma_f32 v82, v10, v4, v82                                // 00000000A8BC: D1CB0052 054A090A
	v_fma_f32 v83, v11, v4, v83                                // 00000000A8C4: D1CB0053 054E090B
	v_fma_f32 v100, v12, v4, v100                              // 00000000A8CC: D1CB0064 0592090C
	v_fma_f32 v101, v13, v4, v101                              // 00000000A8D4: D1CB0065 0596090D
	v_fma_f32 v102, v14, v4, v102                              // 00000000A8DC: D1CB0066 059A090E
	v_fma_f32 v103, v15, v4, v103                              // 00000000A8E4: D1CB0067 059E090F
	buffer_load_dword v49, v34, s[28:31], 0 offen              // 00000000A8EC: E0501000 80073122
	s_waitcnt vmcnt(20)                                        // 00000000A8F4: BF8C4F74
	s_barrier                                                  // 00000000A8F8: BF8A0000
	v_mul_f32_dpp v4, v27, v35 row_newbcast:0 row_mask:0xf bank_mask:0xf// 00000000A8FC: 0A0846FA FF01501B
	v_mfma_f32_16x16x32_fp8_fp8 v[8:11], a[96:97], a[40:41], 0 // 00000000A904: D3F30008 1A025160
	buffer_load_dword v28, v23, s[32:35], 0 offen              // 00000000A90C: E0501000 80081C17
	buffer_load_dwordx4 a[80:83], v60, s[84:87], 0 offen       // 00000000A914: E05C1000 8095503C
	v_mfma_f32_16x16x32_fp8_fp8 v[8:11], a[98:99], a[42:43], v[8:11]// 00000000A91C: D3F30008 1C225562
	v_mfma_f32_16x16x32_fp8_fp8 v[8:11], a[100:101], a[44:45], v[8:11]// 00000000A924: D3F30008 1C225964
	ds_read_b128 a[0:3], v2 offset:10368                       // 00000000A92C: DBFE2880 00000002
	ds_read_b128 a[4:7], v2 offset:10432                       // 00000000A934: DBFE28C0 04000002
	v_mfma_f32_16x16x32_fp8_fp8 v[8:11], a[102:103], a[46:47], v[8:11]// 00000000A93C: D3F30008 1C225D66
	v_mfma_f32_16x16x32_fp8_fp8 v[12:15], a[104:105], a[40:41], 0// 00000000A944: D3F3000C 1A025168
	buffer_load_dwordx4 a[84:87], v60, s[84:87], 0 offen offset:1024// 00000000A94C: E05C1400 8095543C
	v_mfma_f32_16x16x32_fp8_fp8 v[12:15], a[106:107], a[42:43], v[12:15]// 00000000A954: D3F3000C 1C32556A
	v_mfma_f32_16x16x32_fp8_fp8 v[12:15], a[108:109], a[44:45], v[12:15]// 00000000A95C: D3F3000C 1C32596C
	ds_read_b128 a[8:11], v2 offset:10880                      // 00000000A964: DBFE2A80 08000002
	ds_read_b128 a[12:15], v2 offset:10944                     // 00000000A96C: DBFE2AC0 0C000002
	v_mfma_f32_16x16x32_fp8_fp8 v[12:15], a[110:111], a[46:47], v[12:15]// 00000000A974: D3F3000C 1C325D6E
	v_fma_f32 v104, v8, v4, v104                               // 00000000A97C: D1CB0068 05A20908
	v_fma_f32 v105, v9, v4, v105                               // 00000000A984: D1CB0069 05A60909
	v_fma_f32 v106, v10, v4, v106                              // 00000000A98C: D1CB006A 05AA090A
	v_fma_f32 v107, v11, v4, v107                              // 00000000A994: D1CB006B 05AE090B
	v_mul_f32_dpp v6, v27, v36 row_newbcast:0 row_mask:0xf bank_mask:0xf// 00000000A99C: 0A0C48FA FF01501B
	v_mfma_f32_16x16x32_fp8_fp8 v[8:11], a[96:97], a[48:49], 0 // 00000000A9A4: D3F30008 1A026160
	buffer_load_dwordx4 a[88:91], v61, s[84:87], 0 offen       // 00000000A9AC: E05C1000 8095583D
	v_mfma_f32_16x16x32_fp8_fp8 v[8:11], a[98:99], a[50:51], v[8:11]// 00000000A9B4: D3F30008 1C226562
	v_mfma_f32_16x16x32_fp8_fp8 v[8:11], a[100:101], a[52:53], v[8:11]// 00000000A9BC: D3F30008 1C226964
	ds_read_b128 a[16:19], v2 offset:11392                     // 00000000A9C4: DBFE2C80 10000002
	ds_read_b128 a[20:23], v2 offset:11456                     // 00000000A9CC: DBFE2CC0 14000002
	v_mfma_f32_16x16x32_fp8_fp8 v[8:11], a[102:103], a[54:55], v[8:11]// 00000000A9D4: D3F30008 1C226D66
	v_fma_f32 v124, v12, v4, v124                              // 00000000A9DC: D1CB007C 05F2090C
	v_fma_f32 v125, v13, v4, v125                              // 00000000A9E4: D1CB007D 05F6090D
	v_fma_f32 v126, v14, v4, v126                              // 00000000A9EC: D1CB007E 05FA090E
	v_fma_f32 v127, v15, v4, v127                              // 00000000A9F4: D1CB007F 05FE090F
	v_mfma_f32_16x16x32_fp8_fp8 v[12:15], a[104:105], a[48:49], 0// 00000000A9FC: D3F3000C 1A026168
	buffer_load_dwordx4 a[92:95], v61, s[84:87], 0 offen offset:1024// 00000000AA04: E05C1400 80955C3D
	v_mfma_f32_16x16x32_fp8_fp8 v[12:15], a[106:107], a[50:51], v[12:15]// 00000000AA0C: D3F3000C 1C32656A
	v_mfma_f32_16x16x32_fp8_fp8 v[12:15], a[108:109], a[52:53], v[12:15]// 00000000AA14: D3F3000C 1C32696C
	ds_read_b128 a[24:27], v2 offset:11904                     // 00000000AA1C: DBFE2E80 18000002
	ds_read_b128 a[28:31], v2 offset:11968                     // 00000000AA24: DBFE2EC0 1C000002
	v_mfma_f32_16x16x32_fp8_fp8 v[12:15], a[110:111], a[54:55], v[12:15]// 00000000AA2C: D3F3000C 1C326D6E
	v_fma_f32 v108, v8, v6, v108                               // 00000000AA34: D1CB006C 05B20D08
	v_fma_f32 v109, v9, v6, v109                               // 00000000AA3C: D1CB006D 05B60D09
	v_fma_f32 v110, v10, v6, v110                              // 00000000AA44: D1CB006E 05BA0D0A
	v_fma_f32 v111, v11, v6, v111                              // 00000000AA4C: D1CB006F 05BE0D0B
	v_mul_f32_dpp v4, v27, v37 row_newbcast:0 row_mask:0xf bank_mask:0xf// 00000000AA54: 0A084AFA FF01501B
	v_mfma_f32_16x16x32_fp8_fp8 v[8:11], a[96:97], a[56:57], 0 // 00000000AA5C: D3F30008 1A027160
	v_mfma_f32_16x16x32_fp8_fp8 v[8:11], a[98:99], a[58:59], v[8:11]// 00000000AA64: D3F30008 1C227562
	v_mfma_f32_16x16x32_fp8_fp8 v[8:11], a[100:101], a[60:61], v[8:11]// 00000000AA6C: D3F30008 1C227964
	ds_read_b128 a[32:35], v2 offset:12416                     // 00000000AA74: DBFE3080 20000002
	ds_read_b128 a[36:39], v2 offset:12480                     // 00000000AA7C: DBFE30C0 24000002
	v_mfma_f32_16x16x32_fp8_fp8 v[8:11], a[102:103], a[62:63], v[8:11]// 00000000AA84: D3F30008 1C227D66
	v_fma_f32 v128, v12, v6, v128                              // 00000000AA8C: D1CB0080 06020D0C
	v_fma_f32 v129, v13, v6, v129                              // 00000000AA94: D1CB0081 06060D0D
	v_fma_f32 v130, v14, v6, v130                              // 00000000AA9C: D1CB0082 060A0D0E
	v_fma_f32 v131, v15, v6, v131                              // 00000000AAA4: D1CB0083 060E0D0F
	v_mfma_f32_16x16x32_fp8_fp8 v[12:15], a[104:105], a[56:57], 0// 00000000AAAC: D3F3000C 1A027168
	v_mfma_f32_16x16x32_fp8_fp8 v[12:15], a[106:107], a[58:59], v[12:15]// 00000000AAB4: D3F3000C 1C32756A
	v_mfma_f32_16x16x32_fp8_fp8 v[12:15], a[108:109], a[60:61], v[12:15]// 00000000AABC: D3F3000C 1C32796C
	v_mfma_f32_16x16x32_fp8_fp8 v[12:15], a[110:111], a[62:63], v[12:15]// 00000000AAC4: D3F3000C 1C327D6E
	v_fma_f32 v112, v8, v4, v112                               // 00000000AACC: D1CB0070 05C20908
	v_fma_f32 v113, v9, v4, v113                               // 00000000AAD4: D1CB0071 05C60909
	v_fma_f32 v114, v10, v4, v114                              // 00000000AADC: D1CB0072 05CA090A
	v_fma_f32 v115, v11, v4, v115                              // 00000000AAE4: D1CB0073 05CE090B
	v_mul_f32_dpp v6, v27, v38 row_newbcast:0 row_mask:0xf bank_mask:0xf// 00000000AAEC: 0A0C4CFA FF01501B
	v_mfma_f32_16x16x32_fp8_fp8 v[8:11], a[96:97], a[64:65], 0 // 00000000AAF4: D3F30008 1A028160
	v_mfma_f32_16x16x32_fp8_fp8 v[8:11], a[98:99], a[66:67], v[8:11]// 00000000AAFC: D3F30008 1C228562
	v_mfma_f32_16x16x32_fp8_fp8 v[8:11], a[100:101], a[68:69], v[8:11]// 00000000AB04: D3F30008 1C228964
	v_mfma_f32_16x16x32_fp8_fp8 v[8:11], a[102:103], a[70:71], v[8:11]// 00000000AB0C: D3F30008 1C228D66
	v_fma_f32 v132, v12, v4, v132                              // 00000000AB14: D1CB0084 0612090C
	v_fma_f32 v133, v13, v4, v133                              // 00000000AB1C: D1CB0085 0616090D
	v_fma_f32 v134, v14, v4, v134                              // 00000000AB24: D1CB0086 061A090E
	v_fma_f32 v135, v15, v4, v135                              // 00000000AB2C: D1CB0087 061E090F
	v_mfma_f32_16x16x32_fp8_fp8 v[12:15], a[104:105], a[64:65], 0// 00000000AB34: D3F3000C 1A028168
	v_mfma_f32_16x16x32_fp8_fp8 v[12:15], a[106:107], a[66:67], v[12:15]// 00000000AB3C: D3F3000C 1C32856A
	v_mfma_f32_16x16x32_fp8_fp8 v[12:15], a[108:109], a[68:69], v[12:15]// 00000000AB44: D3F3000C 1C32896C
	v_mfma_f32_16x16x32_fp8_fp8 v[12:15], a[110:111], a[70:71], v[12:15]// 00000000AB4C: D3F3000C 1C328D6E
	v_fma_f32 v116, v8, v6, v116                               // 00000000AB54: D1CB0074 05D20D08
	v_fma_f32 v117, v9, v6, v117                               // 00000000AB5C: D1CB0075 05D60D09
	v_fma_f32 v118, v10, v6, v118                              // 00000000AB64: D1CB0076 05DA0D0A
	v_fma_f32 v119, v11, v6, v119                              // 00000000AB6C: D1CB0077 05DE0D0B
	v_mul_f32_dpp v4, v27, v39 row_newbcast:0 row_mask:0xf bank_mask:0xf// 00000000AB74: 0A084EFA FF01501B
	v_mfma_f32_16x16x32_fp8_fp8 v[8:11], a[96:97], a[72:73], 0 // 00000000AB7C: D3F30008 1A029160
	s_add_u32 s60, 0x180, s80                                  // 00000000AB84: 803C50FF 00000180
	s_cmp_lt_u32 s60, s81                                      // 00000000AB8C: BF0A513C
	s_cselect_b32 s57, s57, 0                                  // 00000000AB90: 85398039
	s_cselect_b32 s3, s3, 0                                    // 00000000AB94: 85038003
	v_mfma_f32_16x16x32_fp8_fp8 v[8:11], a[98:99], a[74:75], v[8:11]// 00000000AB98: D3F30008 1C229562
	s_add_u32 s60, 0x100, s80                                  // 00000000ABA0: 803C50FF 00000100
	s_cmp_lt_u32 s60, s81                                      // 00000000ABA8: BF0A513C
	s_cselect_b32 s58, s58, 0                                  // 00000000ABAC: 853A803A
	v_mfma_f32_16x16x32_fp8_fp8 v[8:11], a[100:101], a[76:77], v[8:11]// 00000000ABB0: D3F30008 1C229964
	s_add_u32 s60, 0x100, s80                                  // 00000000ABB8: 803C50FF 00000100
	s_cmp_lt_u32 s60, s81                                      // 00000000ABC0: BF0A513C
	s_cselect_b32 s83, s83, 0                                  // 00000000ABC4: 85538053
	s_cselect_b32 s4, s4, 0                                    // 00000000ABC8: 85048004
	v_mfma_f32_16x16x32_fp8_fp8 v[8:11], a[102:103], a[78:79], v[8:11]// 00000000ABCC: D3F30008 1C229D66
	s_add_u32 s24, s58, s24                                    // 00000000ABD4: 8018183A
	s_addc_u32 s25, 0, s25                                     // 00000000ABD8: 82191980
	v_fma_f32 v136, v12, v6, v136                              // 00000000ABDC: D1CB0088 06220D0C
	v_fma_f32 v137, v13, v6, v137                              // 00000000ABE4: D1CB0089 06260D0D
	v_fma_f32 v138, v14, v6, v138                              // 00000000ABEC: D1CB008A 062A0D0E
	v_fma_f32 v139, v15, v6, v139                              // 00000000ABF4: D1CB008B 062E0D0F
	v_mfma_f32_16x16x32_fp8_fp8 v[12:15], a[104:105], a[72:73], 0// 00000000ABFC: D3F3000C 1A029168
	s_add_u32 s20, s57, s20                                    // 00000000AC04: 80141439
	s_addc_u32 s21, 0, s21                                     // 00000000AC08: 82151580
	s_add_u32 s28, s3, s28                                     // 00000000AC0C: 801C1C03
	s_addc_u32 s29, 0, s29                                     // 00000000AC10: 821D1D80
	v_mfma_f32_16x16x32_fp8_fp8 v[12:15], a[106:107], a[74:75], v[12:15]// 00000000AC14: D3F3000C 1C32956A
	s_add_u32 s84, s83, s84                                    // 00000000AC1C: 80545453
	s_addc_u32 s85, 0, s85                                     // 00000000AC20: 82555580
	v_mfma_f32_16x16x32_fp8_fp8 v[12:15], a[108:109], a[76:77], v[12:15]// 00000000AC24: D3F3000C 1C32996C
	s_add_u32 s32, s4, s32                                     // 00000000AC2C: 80202004
	s_addc_u32 s33, 0, s33                                     // 00000000AC30: 82212180
	v_mfma_f32_16x16x32_fp8_fp8 v[12:15], a[110:111], a[78:79], v[12:15]// 00000000AC34: D3F3000C 1C329D6E
	v_fma_f32 v120, v8, v4, v120                               // 00000000AC3C: D1CB0078 05E20908
	v_fma_f32 v121, v9, v4, v121                               // 00000000AC44: D1CB0079 05E60909
	v_fma_f32 v122, v10, v4, v122                              // 00000000AC4C: D1CB007A 05EA090A
	v_fma_f32 v123, v11, v4, v123                              // 00000000AC54: D1CB007B 05EE090B
	v_fma_f32 v140, v12, v4, v140                              // 00000000AC5C: D1CB008C 0632090C
	v_fma_f32 v141, v13, v4, v141                              // 00000000AC64: D1CB008D 0636090D
	v_fma_f32 v142, v14, v4, v142                              // 00000000AC6C: D1CB008E 063A090E
	v_fma_f32 v143, v15, v4, v143                              // 00000000AC74: D1CB008F 063E090F
	s_addk_i32 s80, 0x80                                       // 00000000AC7C: B7500080
	s_cmp_lt_i32 s80, s81                                      // 00000000AC80: BF045150
	s_cbranch_scc0 label_243C                                  // 00000000AC84: BF840397
	s_waitcnt vmcnt(20) lgkmcnt(0)                             // 00000000AC88: BF8C4074
	v_mul_f32_dpp v4, v25, v40 row_newbcast:0 row_mask:0xf bank_mask:0xf// 00000000AC8C: 0A0850FA FF015019
	v_mfma_f32_16x16x32_fp8_fp8 v[8:11], a[112:113], a[0:1], 0 // 00000000AC94: D3F30008 1A020170
	buffer_load_dword v26, v22, s[32:35], 0 offen              // 00000000AC9C: E0501000 80081A16
	buffer_load_dwordx4 a[96:99], v60, s[24:27], 0 offen       // 00000000ACA4: E05C1000 8086603C
	v_mfma_f32_16x16x32_fp8_fp8 v[8:11], a[114:115], a[2:3], v[8:11]// 00000000ACAC: D3F30008 1C220572
	v_mfma_f32_16x16x32_fp8_fp8 v[8:11], a[116:117], a[4:5], v[8:11]// 00000000ACB4: D3F30008 1C220974
	v_mfma_f32_16x16x32_fp8_fp8 v[8:11], a[118:119], a[6:7], v[8:11]// 00000000ACBC: D3F30008 1C220D76
	v_mfma_f32_16x16x32_fp8_fp8 v[12:15], a[120:121], a[0:1], 0// 00000000ACC4: D3F3000C 1A020178
	buffer_load_dwordx4 a[100:103], v60, s[24:27], 0 offen offset:1024// 00000000ACCC: E05C1400 8086643C
	v_mfma_f32_16x16x32_fp8_fp8 v[12:15], a[122:123], a[2:3], v[12:15]// 00000000ACD4: D3F3000C 1C32057A
	v_mfma_f32_16x16x32_fp8_fp8 v[12:15], a[124:125], a[4:5], v[12:15]// 00000000ACDC: D3F3000C 1C32097C
	v_mfma_f32_16x16x32_fp8_fp8 v[12:15], a[126:127], a[6:7], v[12:15]// 00000000ACE4: D3F3000C 1C320D7E
	v_fma_f32 v64, v8, v4, v64                                 // 00000000ACEC: D1CB0040 05020908
	v_fma_f32 v65, v9, v4, v65                                 // 00000000ACF4: D1CB0041 05060909
	v_fma_f32 v66, v10, v4, v66                                // 00000000ACFC: D1CB0042 050A090A
	v_fma_f32 v67, v11, v4, v67                                // 00000000AD04: D1CB0043 050E090B
	v_mul_f32_dpp v6, v25, v41 row_newbcast:0 row_mask:0xf bank_mask:0xf// 00000000AD0C: 0A0C52FA FF015019
	v_mfma_f32_16x16x32_fp8_fp8 v[8:11], a[112:113], a[8:9], 0 // 00000000AD14: D3F30008 1A021170
	buffer_load_dwordx4 a[104:107], v61, s[24:27], 0 offen     // 00000000AD1C: E05C1000 8086683D
	v_mfma_f32_16x16x32_fp8_fp8 v[8:11], a[114:115], a[10:11], v[8:11]// 00000000AD24: D3F30008 1C221572
	v_mfma_f32_16x16x32_fp8_fp8 v[8:11], a[116:117], a[12:13], v[8:11]// 00000000AD2C: D3F30008 1C221974
	v_mfma_f32_16x16x32_fp8_fp8 v[8:11], a[118:119], a[14:15], v[8:11]// 00000000AD34: D3F30008 1C221D76
	v_fma_f32 v84, v12, v4, v84                                // 00000000AD3C: D1CB0054 0552090C
	v_fma_f32 v85, v13, v4, v85                                // 00000000AD44: D1CB0055 0556090D
	v_fma_f32 v86, v14, v4, v86                                // 00000000AD4C: D1CB0056 055A090E
	v_fma_f32 v87, v15, v4, v87                                // 00000000AD54: D1CB0057 055E090F
	v_mfma_f32_16x16x32_fp8_fp8 v[12:15], a[120:121], a[8:9], 0// 00000000AD5C: D3F3000C 1A021178
	buffer_load_dwordx4 a[108:111], v61, s[24:27], 0 offen offset:1024// 00000000AD64: E05C1400 80866C3D
	buffer_load_dword v50, s[20:23], 0 offen lds               // 00000000AD6C: E0511000 80050032
	s_add_u32 m0, 0x100, s48                                   // 00000000AD74: 807C30FF 00000100
	v_mfma_f32_16x16x32_fp8_fp8 v[12:15], a[122:123], a[10:11], v[12:15]// 00000000AD7C: D3F3000C 1C32157A
	v_mfma_f32_16x16x32_fp8_fp8 v[12:15], a[124:125], a[12:13], v[12:15]// 00000000AD84: D3F3000C 1C32197C
	buffer_load_dword v51, s[20:23], 0 offen lds               // 00000000AD8C: E0511000 80050033
	s_add_u32 m0, 0x200, s48                                   // 00000000AD94: 807C30FF 00000200
	v_mfma_f32_16x16x32_fp8_fp8 v[12:15], a[126:127], a[14:15], v[12:15]// 00000000AD9C: D3F3000C 1C321D7E
	v_fma_f32 v68, v8, v6, v68                                 // 00000000ADA4: D1CB0044 05120D08
	v_fma_f32 v69, v9, v6, v69                                 // 00000000ADAC: D1CB0045 05160D09
	v_fma_f32 v70, v10, v6, v70                                // 00000000ADB4: D1CB0046 051A0D0A
	v_fma_f32 v71, v11, v6, v71                                // 00000000ADBC: D1CB0047 051E0D0B
	v_mul_f32_dpp v4, v25, v42 row_newbcast:0 row_mask:0xf bank_mask:0xf// 00000000ADC4: 0A0854FA FF015019
	v_mfma_f32_16x16x32_fp8_fp8 v[8:11], a[112:113], a[16:17], 0// 00000000ADCC: D3F30008 1A022170
	buffer_load_dword v52, s[20:23], 0 offen lds               // 00000000ADD4: E0511000 80050034
	s_add_u32 m0, 0x300, s48                                   // 00000000ADDC: 807C30FF 00000300
	v_mfma_f32_16x16x32_fp8_fp8 v[8:11], a[114:115], a[18:19], v[8:11]// 00000000ADE4: D3F30008 1C222572
	v_mfma_f32_16x16x32_fp8_fp8 v[8:11], a[116:117], a[20:21], v[8:11]// 00000000ADEC: D3F30008 1C222974
	buffer_load_dword v53, s[20:23], 0 offen lds               // 00000000ADF4: E0511000 80050035
	s_add_u32 m0, 0x400, s48                                   // 00000000ADFC: 807C30FF 00000400
	v_mfma_f32_16x16x32_fp8_fp8 v[8:11], a[118:119], a[22:23], v[8:11]// 00000000AE04: D3F30008 1C222D76
	v_fma_f32 v88, v12, v6, v88                                // 00000000AE0C: D1CB0058 05620D0C
	v_fma_f32 v89, v13, v6, v89                                // 00000000AE14: D1CB0059 05660D0D
	v_fma_f32 v90, v14, v6, v90                                // 00000000AE1C: D1CB005A 056A0D0E
	v_fma_f32 v91, v15, v6, v91                                // 00000000AE24: D1CB005B 056E0D0F
	v_mfma_f32_16x16x32_fp8_fp8 v[12:15], a[120:121], a[16:17], 0// 00000000AE2C: D3F3000C 1A022178
	buffer_load_dword v54, s[20:23], 0 offen lds               // 00000000AE34: E0511000 80050036
	s_add_u32 m0, 0x500, s48                                   // 00000000AE3C: 807C30FF 00000500
	v_mfma_f32_16x16x32_fp8_fp8 v[12:15], a[122:123], a[18:19], v[12:15]// 00000000AE44: D3F3000C 1C32257A
	v_mfma_f32_16x16x32_fp8_fp8 v[12:15], a[124:125], a[20:21], v[12:15]// 00000000AE4C: D3F3000C 1C32297C
	buffer_load_dword v55, s[20:23], 0 offen lds               // 00000000AE54: E0511000 80050037
	s_add_u32 m0, 0x600, s48                                   // 00000000AE5C: 807C30FF 00000600
	v_mfma_f32_16x16x32_fp8_fp8 v[12:15], a[126:127], a[22:23], v[12:15]// 00000000AE64: D3F3000C 1C322D7E
	v_fma_f32 v72, v8, v4, v72                                 // 00000000AE6C: D1CB0048 05220908
	v_fma_f32 v73, v9, v4, v73                                 // 00000000AE74: D1CB0049 05260909
	v_fma_f32 v74, v10, v4, v74                                // 00000000AE7C: D1CB004A 052A090A
	v_fma_f32 v75, v11, v4, v75                                // 00000000AE84: D1CB004B 052E090B
	v_mul_f32_dpp v6, v25, v43 row_newbcast:0 row_mask:0xf bank_mask:0xf// 00000000AE8C: 0A0C56FA FF015019
	v_mfma_f32_16x16x32_fp8_fp8 v[8:11], a[112:113], a[24:25], 0// 00000000AE94: D3F30008 1A023170
	buffer_load_dword v56, s[20:23], 0 offen lds               // 00000000AE9C: E0511000 80050038
	s_add_u32 m0, 0x700, s48                                   // 00000000AEA4: 807C30FF 00000700
	v_mfma_f32_16x16x32_fp8_fp8 v[8:11], a[114:115], a[26:27], v[8:11]// 00000000AEAC: D3F30008 1C223572
	v_mfma_f32_16x16x32_fp8_fp8 v[8:11], a[116:117], a[28:29], v[8:11]// 00000000AEB4: D3F30008 1C223974
	buffer_load_dword v57, s[20:23], 0 offen lds               // 00000000AEBC: E0511000 80050039
	s_add_u32 m0, 0x800, s48                                   // 00000000AEC4: 807C30FF 00000800
	v_mfma_f32_16x16x32_fp8_fp8 v[8:11], a[118:119], a[30:31], v[8:11]// 00000000AECC: D3F30008 1C223D76
	v_fma_f32 v92, v12, v4, v92                                // 00000000AED4: D1CB005C 0572090C
	v_fma_f32 v93, v13, v4, v93                                // 00000000AEDC: D1CB005D 0576090D
	v_fma_f32 v94, v14, v4, v94                                // 00000000AEE4: D1CB005E 057A090E
	v_fma_f32 v95, v15, v4, v95                                // 00000000AEEC: D1CB005F 057E090F
	v_mfma_f32_16x16x32_fp8_fp8 v[12:15], a[120:121], a[24:25], 0// 00000000AEF4: D3F3000C 1A023178
	buffer_load_dword v58, s[20:23], 0 offen lds               // 00000000AEFC: E0511000 8005003A
	s_add_u32 m0, 0x900, s48                                   // 00000000AF04: 807C30FF 00000900
	v_mfma_f32_16x16x32_fp8_fp8 v[12:15], a[122:123], a[26:27], v[12:15]// 00000000AF0C: D3F3000C 1C32357A
	v_mfma_f32_16x16x32_fp8_fp8 v[12:15], a[124:125], a[28:29], v[12:15]// 00000000AF14: D3F3000C 1C32397C
	buffer_load_dword v59, s[20:23], 0 offen lds               // 00000000AF1C: E0511000 8005003B
	s_add_u32 m0, 0, s49                                       // 00000000AF24: 807C3180
	v_mfma_f32_16x16x32_fp8_fp8 v[12:15], a[126:127], a[30:31], v[12:15]// 00000000AF28: D3F3000C 1C323D7E
	v_fma_f32 v76, v8, v6, v76                                 // 00000000AF30: D1CB004C 05320D08
	v_fma_f32 v77, v9, v6, v77                                 // 00000000AF38: D1CB004D 05360D09
	v_fma_f32 v78, v10, v6, v78                                // 00000000AF40: D1CB004E 053A0D0A
	v_fma_f32 v79, v11, v6, v79                                // 00000000AF48: D1CB004F 053E0D0B
	v_mul_f32_dpp v4, v25, v44 row_newbcast:0 row_mask:0xf bank_mask:0xf// 00000000AF50: 0A0858FA FF015019
	v_mfma_f32_16x16x32_fp8_fp8 v[8:11], a[112:113], a[32:33], 0// 00000000AF58: D3F30008 1A024170
	buffer_load_dword v35, v30, s[28:31], 0 offen              // 00000000AF60: E0501000 8007231E
	v_mfma_f32_16x16x32_fp8_fp8 v[8:11], a[114:115], a[34:35], v[8:11]// 00000000AF68: D3F30008 1C224572
	v_mfma_f32_16x16x32_fp8_fp8 v[8:11], a[116:117], a[36:37], v[8:11]// 00000000AF70: D3F30008 1C224974
	buffer_load_dword v36, v31, s[28:31], 0 offen              // 00000000AF78: E0501000 8007241F
	v_mfma_f32_16x16x32_fp8_fp8 v[8:11], a[118:119], a[38:39], v[8:11]// 00000000AF80: D3F30008 1C224D76
	v_fma_f32 v96, v12, v6, v96                                // 00000000AF88: D1CB0060 05820D0C
	v_fma_f32 v97, v13, v6, v97                                // 00000000AF90: D1CB0061 05860D0D
	v_fma_f32 v98, v14, v6, v98                                // 00000000AF98: D1CB0062 058A0D0E
	v_fma_f32 v99, v15, v6, v99                                // 00000000AFA0: D1CB0063 058E0D0F
	v_mfma_f32_16x16x32_fp8_fp8 v[12:15], a[120:121], a[32:33], 0// 00000000AFA8: D3F3000C 1A024178
	buffer_load_dword v37, v32, s[28:31], 0 offen              // 00000000AFB0: E0501000 80072520
	v_mfma_f32_16x16x32_fp8_fp8 v[12:15], a[122:123], a[34:35], v[12:15]// 00000000AFB8: D3F3000C 1C32457A
	v_mfma_f32_16x16x32_fp8_fp8 v[12:15], a[124:125], a[36:37], v[12:15]// 00000000AFC0: D3F3000C 1C32497C
	buffer_load_dword v38, v33, s[28:31], 0 offen              // 00000000AFC8: E0501000 80072621
	v_mfma_f32_16x16x32_fp8_fp8 v[12:15], a[126:127], a[38:39], v[12:15]// 00000000AFD0: D3F3000C 1C324D7E
	v_fma_f32 v80, v8, v4, v80                                 // 00000000AFD8: D1CB0050 05420908
	v_fma_f32 v81, v9, v4, v81                                 // 00000000AFE0: D1CB0051 05460909
	v_fma_f32 v82, v10, v4, v82                                // 00000000AFE8: D1CB0052 054A090A
	v_fma_f32 v83, v11, v4, v83                                // 00000000AFF0: D1CB0053 054E090B
	v_fma_f32 v100, v12, v4, v100                              // 00000000AFF8: D1CB0064 0592090C
	v_fma_f32 v101, v13, v4, v101                              // 00000000B000: D1CB0065 0596090D
	v_fma_f32 v102, v14, v4, v102                              // 00000000B008: D1CB0066 059A090E
	v_fma_f32 v103, v15, v4, v103                              // 00000000B010: D1CB0067 059E090F
	buffer_load_dword v39, v34, s[28:31], 0 offen              // 00000000B018: E0501000 80072722
	s_waitcnt vmcnt(20)                                        // 00000000B020: BF8C4F74
	s_barrier                                                  // 00000000B024: BF8A0000
	v_mul_f32_dpp v4, v28, v40 row_newbcast:0 row_mask:0xf bank_mask:0xf// 00000000B028: 0A0850FA FF01501C
	v_mfma_f32_16x16x32_fp8_fp8 v[8:11], a[80:81], a[0:1], 0   // 00000000B030: D3F30008 1A020150
	buffer_load_dword v29, v23, s[32:35], 0 offen              // 00000000B038: E0501000 80081D17
	buffer_load_dwordx4 a[112:115], v60, s[84:87], 0 offen     // 00000000B040: E05C1000 8095703C
	v_mfma_f32_16x16x32_fp8_fp8 v[8:11], a[82:83], a[2:3], v[8:11]// 00000000B048: D3F30008 1C220552
	v_mfma_f32_16x16x32_fp8_fp8 v[8:11], a[84:85], a[4:5], v[8:11]// 00000000B050: D3F30008 1C220954
	ds_read_b128 a[40:43], v2 offset:20736                     // 00000000B058: DBFE5100 28000002
	ds_read_b128 a[44:47], v2 offset:20800                     // 00000000B060: DBFE5140 2C000002
	v_mfma_f32_16x16x32_fp8_fp8 v[8:11], a[86:87], a[6:7], v[8:11]// 00000000B068: D3F30008 1C220D56
	v_mfma_f32_16x16x32_fp8_fp8 v[12:15], a[88:89], a[0:1], 0  // 00000000B070: D3F3000C 1A020158
	buffer_load_dwordx4 a[116:119], v60, s[84:87], 0 offen offset:1024// 00000000B078: E05C1400 8095743C
	v_mfma_f32_16x16x32_fp8_fp8 v[12:15], a[90:91], a[2:3], v[12:15]// 00000000B080: D3F3000C 1C32055A
	v_mfma_f32_16x16x32_fp8_fp8 v[12:15], a[92:93], a[4:5], v[12:15]// 00000000B088: D3F3000C 1C32095C
	ds_read_b128 a[48:51], v2 offset:21248                     // 00000000B090: DBFE5300 30000002
	ds_read_b128 a[52:55], v2 offset:21312                     // 00000000B098: DBFE5340 34000002
	v_mfma_f32_16x16x32_fp8_fp8 v[12:15], a[94:95], a[6:7], v[12:15]// 00000000B0A0: D3F3000C 1C320D5E
	v_fma_f32 v104, v8, v4, v104                               // 00000000B0A8: D1CB0068 05A20908
	v_fma_f32 v105, v9, v4, v105                               // 00000000B0B0: D1CB0069 05A60909
	v_fma_f32 v106, v10, v4, v106                              // 00000000B0B8: D1CB006A 05AA090A
	v_fma_f32 v107, v11, v4, v107                              // 00000000B0C0: D1CB006B 05AE090B
	v_mul_f32_dpp v6, v28, v41 row_newbcast:0 row_mask:0xf bank_mask:0xf// 00000000B0C8: 0A0C52FA FF01501C
	v_mfma_f32_16x16x32_fp8_fp8 v[8:11], a[80:81], a[8:9], 0   // 00000000B0D0: D3F30008 1A021150
	buffer_load_dwordx4 a[120:123], v61, s[84:87], 0 offen     // 00000000B0D8: E05C1000 8095783D
	v_mfma_f32_16x16x32_fp8_fp8 v[8:11], a[82:83], a[10:11], v[8:11]// 00000000B0E0: D3F30008 1C221552
	v_mfma_f32_16x16x32_fp8_fp8 v[8:11], a[84:85], a[12:13], v[8:11]// 00000000B0E8: D3F30008 1C221954
	ds_read_b128 a[56:59], v2 offset:21760                     // 00000000B0F0: DBFE5500 38000002
	ds_read_b128 a[60:63], v2 offset:21824                     // 00000000B0F8: DBFE5540 3C000002
	v_mfma_f32_16x16x32_fp8_fp8 v[8:11], a[86:87], a[14:15], v[8:11]// 00000000B100: D3F30008 1C221D56
	v_fma_f32 v124, v12, v4, v124                              // 00000000B108: D1CB007C 05F2090C
	v_fma_f32 v125, v13, v4, v125                              // 00000000B110: D1CB007D 05F6090D
	v_fma_f32 v126, v14, v4, v126                              // 00000000B118: D1CB007E 05FA090E
	v_fma_f32 v127, v15, v4, v127                              // 00000000B120: D1CB007F 05FE090F
	v_mfma_f32_16x16x32_fp8_fp8 v[12:15], a[88:89], a[8:9], 0  // 00000000B128: D3F3000C 1A021158
	buffer_load_dwordx4 a[124:127], v61, s[84:87], 0 offen offset:1024// 00000000B130: E05C1400 80957C3D
	v_mfma_f32_16x16x32_fp8_fp8 v[12:15], a[90:91], a[10:11], v[12:15]// 00000000B138: D3F3000C 1C32155A
	v_mfma_f32_16x16x32_fp8_fp8 v[12:15], a[92:93], a[12:13], v[12:15]// 00000000B140: D3F3000C 1C32195C
	ds_read_b128 a[64:67], v2 offset:22272                     // 00000000B148: DBFE5700 40000002
	ds_read_b128 a[68:71], v2 offset:22336                     // 00000000B150: DBFE5740 44000002
	v_mfma_f32_16x16x32_fp8_fp8 v[12:15], a[94:95], a[14:15], v[12:15]// 00000000B158: D3F3000C 1C321D5E
	v_fma_f32 v108, v8, v6, v108                               // 00000000B160: D1CB006C 05B20D08
	v_fma_f32 v109, v9, v6, v109                               // 00000000B168: D1CB006D 05B60D09
	v_fma_f32 v110, v10, v6, v110                              // 00000000B170: D1CB006E 05BA0D0A
	v_fma_f32 v111, v11, v6, v111                              // 00000000B178: D1CB006F 05BE0D0B
	v_mul_f32_dpp v4, v28, v42 row_newbcast:0 row_mask:0xf bank_mask:0xf// 00000000B180: 0A0854FA FF01501C
	v_mfma_f32_16x16x32_fp8_fp8 v[8:11], a[80:81], a[16:17], 0 // 00000000B188: D3F30008 1A022150
	v_mfma_f32_16x16x32_fp8_fp8 v[8:11], a[82:83], a[18:19], v[8:11]// 00000000B190: D3F30008 1C222552
	v_mfma_f32_16x16x32_fp8_fp8 v[8:11], a[84:85], a[20:21], v[8:11]// 00000000B198: D3F30008 1C222954
	ds_read_b128 a[72:75], v2 offset:22784                     // 00000000B1A0: DBFE5900 48000002
	ds_read_b128 a[76:79], v2 offset:22848                     // 00000000B1A8: DBFE5940 4C000002
	v_mfma_f32_16x16x32_fp8_fp8 v[8:11], a[86:87], a[22:23], v[8:11]// 00000000B1B0: D3F30008 1C222D56
	v_fma_f32 v128, v12, v6, v128                              // 00000000B1B8: D1CB0080 06020D0C
	v_fma_f32 v129, v13, v6, v129                              // 00000000B1C0: D1CB0081 06060D0D
	v_fma_f32 v130, v14, v6, v130                              // 00000000B1C8: D1CB0082 060A0D0E
	v_fma_f32 v131, v15, v6, v131                              // 00000000B1D0: D1CB0083 060E0D0F
	v_mfma_f32_16x16x32_fp8_fp8 v[12:15], a[88:89], a[16:17], 0// 00000000B1D8: D3F3000C 1A022158
	v_mfma_f32_16x16x32_fp8_fp8 v[12:15], a[90:91], a[18:19], v[12:15]// 00000000B1E0: D3F3000C 1C32255A
	v_mfma_f32_16x16x32_fp8_fp8 v[12:15], a[92:93], a[20:21], v[12:15]// 00000000B1E8: D3F3000C 1C32295C
	v_mfma_f32_16x16x32_fp8_fp8 v[12:15], a[94:95], a[22:23], v[12:15]// 00000000B1F0: D3F3000C 1C322D5E
	v_fma_f32 v112, v8, v4, v112                               // 00000000B1F8: D1CB0070 05C20908
	v_fma_f32 v113, v9, v4, v113                               // 00000000B200: D1CB0071 05C60909
	v_fma_f32 v114, v10, v4, v114                              // 00000000B208: D1CB0072 05CA090A
	v_fma_f32 v115, v11, v4, v115                              // 00000000B210: D1CB0073 05CE090B
	v_mul_f32_dpp v6, v28, v43 row_newbcast:0 row_mask:0xf bank_mask:0xf// 00000000B218: 0A0C56FA FF01501C
	v_mfma_f32_16x16x32_fp8_fp8 v[8:11], a[80:81], a[24:25], 0 // 00000000B220: D3F30008 1A023150
	v_mfma_f32_16x16x32_fp8_fp8 v[8:11], a[82:83], a[26:27], v[8:11]// 00000000B228: D3F30008 1C223552
	v_mfma_f32_16x16x32_fp8_fp8 v[8:11], a[84:85], a[28:29], v[8:11]// 00000000B230: D3F30008 1C223954
	v_mfma_f32_16x16x32_fp8_fp8 v[8:11], a[86:87], a[30:31], v[8:11]// 00000000B238: D3F30008 1C223D56
	v_fma_f32 v132, v12, v4, v132                              // 00000000B240: D1CB0084 0612090C
	v_fma_f32 v133, v13, v4, v133                              // 00000000B248: D1CB0085 0616090D
	v_fma_f32 v134, v14, v4, v134                              // 00000000B250: D1CB0086 061A090E
	v_fma_f32 v135, v15, v4, v135                              // 00000000B258: D1CB0087 061E090F
	v_mfma_f32_16x16x32_fp8_fp8 v[12:15], a[88:89], a[24:25], 0// 00000000B260: D3F3000C 1A023158
	v_mfma_f32_16x16x32_fp8_fp8 v[12:15], a[90:91], a[26:27], v[12:15]// 00000000B268: D3F3000C 1C32355A
	v_mfma_f32_16x16x32_fp8_fp8 v[12:15], a[92:93], a[28:29], v[12:15]// 00000000B270: D3F3000C 1C32395C
	v_mfma_f32_16x16x32_fp8_fp8 v[12:15], a[94:95], a[30:31], v[12:15]// 00000000B278: D3F3000C 1C323D5E
	v_fma_f32 v116, v8, v6, v116                               // 00000000B280: D1CB0074 05D20D08
	v_fma_f32 v117, v9, v6, v117                               // 00000000B288: D1CB0075 05D60D09
	v_fma_f32 v118, v10, v6, v118                              // 00000000B290: D1CB0076 05DA0D0A
	v_fma_f32 v119, v11, v6, v119                              // 00000000B298: D1CB0077 05DE0D0B
	v_mul_f32_dpp v4, v28, v44 row_newbcast:0 row_mask:0xf bank_mask:0xf// 00000000B2A0: 0A0858FA FF01501C
	v_mfma_f32_16x16x32_fp8_fp8 v[8:11], a[80:81], a[32:33], 0 // 00000000B2A8: D3F30008 1A024150
	s_add_u32 s60, 0x180, s80                                  // 00000000B2B0: 803C50FF 00000180
	s_cmp_lt_u32 s60, s81                                      // 00000000B2B8: BF0A513C
	s_cselect_b32 s57, s57, 0                                  // 00000000B2BC: 85398039
	s_cselect_b32 s3, s3, 0                                    // 00000000B2C0: 85038003
	v_mfma_f32_16x16x32_fp8_fp8 v[8:11], a[82:83], a[34:35], v[8:11]// 00000000B2C4: D3F30008 1C224552
	s_add_u32 s60, 0x100, s80                                  // 00000000B2CC: 803C50FF 00000100
	s_cmp_lt_u32 s60, s81                                      // 00000000B2D4: BF0A513C
	s_cselect_b32 s58, s58, 0                                  // 00000000B2D8: 853A803A
	v_mfma_f32_16x16x32_fp8_fp8 v[8:11], a[84:85], a[36:37], v[8:11]// 00000000B2DC: D3F30008 1C224954
	s_add_u32 s60, 0x100, s80                                  // 00000000B2E4: 803C50FF 00000100
	s_cmp_lt_u32 s60, s81                                      // 00000000B2EC: BF0A513C
	s_cselect_b32 s83, s83, 0                                  // 00000000B2F0: 85538053
	s_cselect_b32 s4, s4, 0                                    // 00000000B2F4: 85048004
	v_mfma_f32_16x16x32_fp8_fp8 v[8:11], a[86:87], a[38:39], v[8:11]// 00000000B2F8: D3F30008 1C224D56
	s_add_u32 s24, s58, s24                                    // 00000000B300: 8018183A
	s_addc_u32 s25, 0, s25                                     // 00000000B304: 82191980
	v_fma_f32 v136, v12, v6, v136                              // 00000000B308: D1CB0088 06220D0C
	v_fma_f32 v137, v13, v6, v137                              // 00000000B310: D1CB0089 06260D0D
	v_fma_f32 v138, v14, v6, v138                              // 00000000B318: D1CB008A 062A0D0E
	v_fma_f32 v139, v15, v6, v139                              // 00000000B320: D1CB008B 062E0D0F
	v_mfma_f32_16x16x32_fp8_fp8 v[12:15], a[88:89], a[32:33], 0// 00000000B328: D3F3000C 1A024158
	s_add_u32 s20, s57, s20                                    // 00000000B330: 80141439
	s_addc_u32 s21, 0, s21                                     // 00000000B334: 82151580
	s_add_u32 s28, s3, s28                                     // 00000000B338: 801C1C03
	s_addc_u32 s29, 0, s29                                     // 00000000B33C: 821D1D80
	v_mfma_f32_16x16x32_fp8_fp8 v[12:15], a[90:91], a[34:35], v[12:15]// 00000000B340: D3F3000C 1C32455A
	s_add_u32 s84, s83, s84                                    // 00000000B348: 80545453
	s_addc_u32 s85, 0, s85                                     // 00000000B34C: 82555580
	v_mfma_f32_16x16x32_fp8_fp8 v[12:15], a[92:93], a[36:37], v[12:15]// 00000000B350: D3F3000C 1C32495C
	s_add_u32 s32, s4, s32                                     // 00000000B358: 80202004
	s_addc_u32 s33, 0, s33                                     // 00000000B35C: 82212180
	v_mfma_f32_16x16x32_fp8_fp8 v[12:15], a[94:95], a[38:39], v[12:15]// 00000000B360: D3F3000C 1C324D5E
	v_fma_f32 v120, v8, v4, v120                               // 00000000B368: D1CB0078 05E20908
	v_fma_f32 v121, v9, v4, v121                               // 00000000B370: D1CB0079 05E60909
	v_fma_f32 v122, v10, v4, v122                              // 00000000B378: D1CB007A 05EA090A
	v_fma_f32 v123, v11, v4, v123                              // 00000000B380: D1CB007B 05EE090B
	v_fma_f32 v140, v12, v4, v140                              // 00000000B388: D1CB008C 0632090C
	v_fma_f32 v141, v13, v4, v141                              // 00000000B390: D1CB008D 0636090D
	v_fma_f32 v142, v14, v4, v142                              // 00000000B398: D1CB008E 063A090E
	v_fma_f32 v143, v15, v4, v143                              // 00000000B3A0: D1CB008F 063E090F
	s_addk_i32 s80, 0x80                                       // 00000000B3A8: B7500080
	s_cmp_lt_i32 s80, s81                                      // 00000000B3AC: BF045150
	s_cbranch_scc0 label_243C                                  // 00000000B3B0: BF8401CC
	s_waitcnt vmcnt(20) lgkmcnt(0)                             // 00000000B3B4: BF8C4074
	v_mul_f32_dpp v4, v26, v45 row_newbcast:0 row_mask:0xf bank_mask:0xf// 00000000B3B8: 0A085AFA FF01501A
	v_mfma_f32_16x16x32_fp8_fp8 v[8:11], a[96:97], a[40:41], 0 // 00000000B3C0: D3F30008 1A025160
	buffer_load_dword v24, v22, s[32:35], 0 offen              // 00000000B3C8: E0501000 80081816
	buffer_load_dwordx4 a[80:83], v60, s[24:27], 0 offen       // 00000000B3D0: E05C1000 8086503C
	v_mfma_f32_16x16x32_fp8_fp8 v[8:11], a[98:99], a[42:43], v[8:11]// 00000000B3D8: D3F30008 1C225562
	v_mfma_f32_16x16x32_fp8_fp8 v[8:11], a[100:101], a[44:45], v[8:11]// 00000000B3E0: D3F30008 1C225964
	v_mfma_f32_16x16x32_fp8_fp8 v[8:11], a[102:103], a[46:47], v[8:11]// 00000000B3E8: D3F30008 1C225D66
	v_mfma_f32_16x16x32_fp8_fp8 v[12:15], a[104:105], a[40:41], 0// 00000000B3F0: D3F3000C 1A025168
	buffer_load_dwordx4 a[84:87], v60, s[24:27], 0 offen offset:1024// 00000000B3F8: E05C1400 8086543C
	v_mfma_f32_16x16x32_fp8_fp8 v[12:15], a[106:107], a[42:43], v[12:15]// 00000000B400: D3F3000C 1C32556A
	v_mfma_f32_16x16x32_fp8_fp8 v[12:15], a[108:109], a[44:45], v[12:15]// 00000000B408: D3F3000C 1C32596C
	v_mfma_f32_16x16x32_fp8_fp8 v[12:15], a[110:111], a[46:47], v[12:15]// 00000000B410: D3F3000C 1C325D6E
	v_fma_f32 v64, v8, v4, v64                                 // 00000000B418: D1CB0040 05020908
	v_fma_f32 v65, v9, v4, v65                                 // 00000000B420: D1CB0041 05060909
	v_fma_f32 v66, v10, v4, v66                                // 00000000B428: D1CB0042 050A090A
	v_fma_f32 v67, v11, v4, v67                                // 00000000B430: D1CB0043 050E090B
	v_mul_f32_dpp v6, v26, v46 row_newbcast:0 row_mask:0xf bank_mask:0xf// 00000000B438: 0A0C5CFA FF01501A
	v_mfma_f32_16x16x32_fp8_fp8 v[8:11], a[96:97], a[48:49], 0 // 00000000B440: D3F30008 1A026160
	buffer_load_dwordx4 a[88:91], v61, s[24:27], 0 offen       // 00000000B448: E05C1000 8086583D
	v_mfma_f32_16x16x32_fp8_fp8 v[8:11], a[98:99], a[50:51], v[8:11]// 00000000B450: D3F30008 1C226562
	v_mfma_f32_16x16x32_fp8_fp8 v[8:11], a[100:101], a[52:53], v[8:11]// 00000000B458: D3F30008 1C226964
	v_mfma_f32_16x16x32_fp8_fp8 v[8:11], a[102:103], a[54:55], v[8:11]// 00000000B460: D3F30008 1C226D66
	v_fma_f32 v84, v12, v4, v84                                // 00000000B468: D1CB0054 0552090C
	v_fma_f32 v85, v13, v4, v85                                // 00000000B470: D1CB0055 0556090D
	v_fma_f32 v86, v14, v4, v86                                // 00000000B478: D1CB0056 055A090E
	v_fma_f32 v87, v15, v4, v87                                // 00000000B480: D1CB0057 055E090F
	v_mfma_f32_16x16x32_fp8_fp8 v[12:15], a[104:105], a[48:49], 0// 00000000B488: D3F3000C 1A026168
	buffer_load_dwordx4 a[92:95], v61, s[24:27], 0 offen offset:1024// 00000000B490: E05C1400 80865C3D
	buffer_load_dword v50, s[20:23], 0 offen lds               // 00000000B498: E0511000 80050032
	s_add_u32 m0, 0x100, s49                                   // 00000000B4A0: 807C31FF 00000100
	v_mfma_f32_16x16x32_fp8_fp8 v[12:15], a[106:107], a[50:51], v[12:15]// 00000000B4A8: D3F3000C 1C32656A
	v_mfma_f32_16x16x32_fp8_fp8 v[12:15], a[108:109], a[52:53], v[12:15]// 00000000B4B0: D3F3000C 1C32696C
	buffer_load_dword v51, s[20:23], 0 offen lds               // 00000000B4B8: E0511000 80050033
	s_add_u32 m0, 0x200, s49                                   // 00000000B4C0: 807C31FF 00000200
	v_mfma_f32_16x16x32_fp8_fp8 v[12:15], a[110:111], a[54:55], v[12:15]// 00000000B4C8: D3F3000C 1C326D6E
	v_fma_f32 v68, v8, v6, v68                                 // 00000000B4D0: D1CB0044 05120D08
	v_fma_f32 v69, v9, v6, v69                                 // 00000000B4D8: D1CB0045 05160D09
	v_fma_f32 v70, v10, v6, v70                                // 00000000B4E0: D1CB0046 051A0D0A
	v_fma_f32 v71, v11, v6, v71                                // 00000000B4E8: D1CB0047 051E0D0B
	v_mul_f32_dpp v4, v26, v47 row_newbcast:0 row_mask:0xf bank_mask:0xf// 00000000B4F0: 0A085EFA FF01501A
	v_mfma_f32_16x16x32_fp8_fp8 v[8:11], a[96:97], a[56:57], 0 // 00000000B4F8: D3F30008 1A027160
	buffer_load_dword v52, s[20:23], 0 offen lds               // 00000000B500: E0511000 80050034
	s_add_u32 m0, 0x300, s49                                   // 00000000B508: 807C31FF 00000300
	v_mfma_f32_16x16x32_fp8_fp8 v[8:11], a[98:99], a[58:59], v[8:11]// 00000000B510: D3F30008 1C227562
	v_mfma_f32_16x16x32_fp8_fp8 v[8:11], a[100:101], a[60:61], v[8:11]// 00000000B518: D3F30008 1C227964
	buffer_load_dword v53, s[20:23], 0 offen lds               // 00000000B520: E0511000 80050035
	s_add_u32 m0, 0x400, s49                                   // 00000000B528: 807C31FF 00000400
	v_mfma_f32_16x16x32_fp8_fp8 v[8:11], a[102:103], a[62:63], v[8:11]// 00000000B530: D3F30008 1C227D66
	v_fma_f32 v88, v12, v6, v88                                // 00000000B538: D1CB0058 05620D0C
	v_fma_f32 v89, v13, v6, v89                                // 00000000B540: D1CB0059 05660D0D
	v_fma_f32 v90, v14, v6, v90                                // 00000000B548: D1CB005A 056A0D0E
	v_fma_f32 v91, v15, v6, v91                                // 00000000B550: D1CB005B 056E0D0F
	v_mfma_f32_16x16x32_fp8_fp8 v[12:15], a[104:105], a[56:57], 0// 00000000B558: D3F3000C 1A027168
	buffer_load_dword v54, s[20:23], 0 offen lds               // 00000000B560: E0511000 80050036
	s_add_u32 m0, 0x500, s49                                   // 00000000B568: 807C31FF 00000500
	v_mfma_f32_16x16x32_fp8_fp8 v[12:15], a[106:107], a[58:59], v[12:15]// 00000000B570: D3F3000C 1C32756A
	v_mfma_f32_16x16x32_fp8_fp8 v[12:15], a[108:109], a[60:61], v[12:15]// 00000000B578: D3F3000C 1C32796C
	buffer_load_dword v55, s[20:23], 0 offen lds               // 00000000B580: E0511000 80050037
	s_add_u32 m0, 0x600, s49                                   // 00000000B588: 807C31FF 00000600
	v_mfma_f32_16x16x32_fp8_fp8 v[12:15], a[110:111], a[62:63], v[12:15]// 00000000B590: D3F3000C 1C327D6E
	v_fma_f32 v72, v8, v4, v72                                 // 00000000B598: D1CB0048 05220908
	v_fma_f32 v73, v9, v4, v73                                 // 00000000B5A0: D1CB0049 05260909
	v_fma_f32 v74, v10, v4, v74                                // 00000000B5A8: D1CB004A 052A090A
	v_fma_f32 v75, v11, v4, v75                                // 00000000B5B0: D1CB004B 052E090B
	v_mul_f32_dpp v6, v26, v48 row_newbcast:0 row_mask:0xf bank_mask:0xf// 00000000B5B8: 0A0C60FA FF01501A
	v_mfma_f32_16x16x32_fp8_fp8 v[8:11], a[96:97], a[64:65], 0 // 00000000B5C0: D3F30008 1A028160
	buffer_load_dword v56, s[20:23], 0 offen lds               // 00000000B5C8: E0511000 80050038
	s_add_u32 m0, 0x700, s49                                   // 00000000B5D0: 807C31FF 00000700
	v_mfma_f32_16x16x32_fp8_fp8 v[8:11], a[98:99], a[66:67], v[8:11]// 00000000B5D8: D3F30008 1C228562
	v_mfma_f32_16x16x32_fp8_fp8 v[8:11], a[100:101], a[68:69], v[8:11]// 00000000B5E0: D3F30008 1C228964
	buffer_load_dword v57, s[20:23], 0 offen lds               // 00000000B5E8: E0511000 80050039
	s_add_u32 m0, 0x800, s49                                   // 00000000B5F0: 807C31FF 00000800
	v_mfma_f32_16x16x32_fp8_fp8 v[8:11], a[102:103], a[70:71], v[8:11]// 00000000B5F8: D3F30008 1C228D66
	v_fma_f32 v92, v12, v4, v92                                // 00000000B600: D1CB005C 0572090C
	v_fma_f32 v93, v13, v4, v93                                // 00000000B608: D1CB005D 0576090D
	v_fma_f32 v94, v14, v4, v94                                // 00000000B610: D1CB005E 057A090E
	v_fma_f32 v95, v15, v4, v95                                // 00000000B618: D1CB005F 057E090F
	v_mfma_f32_16x16x32_fp8_fp8 v[12:15], a[104:105], a[64:65], 0// 00000000B620: D3F3000C 1A028168
	buffer_load_dword v58, s[20:23], 0 offen lds               // 00000000B628: E0511000 8005003A
	s_add_u32 m0, 0x900, s49                                   // 00000000B630: 807C31FF 00000900
	v_mfma_f32_16x16x32_fp8_fp8 v[12:15], a[106:107], a[66:67], v[12:15]// 00000000B638: D3F3000C 1C32856A
	v_mfma_f32_16x16x32_fp8_fp8 v[12:15], a[108:109], a[68:69], v[12:15]// 00000000B640: D3F3000C 1C32896C
	buffer_load_dword v59, s[20:23], 0 offen lds               // 00000000B648: E0511000 8005003B
	s_add_u32 m0, 0, s50                                       // 00000000B650: 807C3280
	v_mfma_f32_16x16x32_fp8_fp8 v[12:15], a[110:111], a[70:71], v[12:15]// 00000000B654: D3F3000C 1C328D6E
	v_fma_f32 v76, v8, v6, v76                                 // 00000000B65C: D1CB004C 05320D08
	v_fma_f32 v77, v9, v6, v77                                 // 00000000B664: D1CB004D 05360D09
	v_fma_f32 v78, v10, v6, v78                                // 00000000B66C: D1CB004E 053A0D0A
	v_fma_f32 v79, v11, v6, v79                                // 00000000B674: D1CB004F 053E0D0B
	v_mul_f32_dpp v4, v26, v49 row_newbcast:0 row_mask:0xf bank_mask:0xf// 00000000B67C: 0A0862FA FF01501A
	v_mfma_f32_16x16x32_fp8_fp8 v[8:11], a[96:97], a[72:73], 0 // 00000000B684: D3F30008 1A029160
	buffer_load_dword v40, v30, s[28:31], 0 offen              // 00000000B68C: E0501000 8007281E
	v_mfma_f32_16x16x32_fp8_fp8 v[8:11], a[98:99], a[74:75], v[8:11]// 00000000B694: D3F30008 1C229562
	v_mfma_f32_16x16x32_fp8_fp8 v[8:11], a[100:101], a[76:77], v[8:11]// 00000000B69C: D3F30008 1C229964
	buffer_load_dword v41, v31, s[28:31], 0 offen              // 00000000B6A4: E0501000 8007291F
	v_mfma_f32_16x16x32_fp8_fp8 v[8:11], a[102:103], a[78:79], v[8:11]// 00000000B6AC: D3F30008 1C229D66
	v_fma_f32 v96, v12, v6, v96                                // 00000000B6B4: D1CB0060 05820D0C
	v_fma_f32 v97, v13, v6, v97                                // 00000000B6BC: D1CB0061 05860D0D
	v_fma_f32 v98, v14, v6, v98                                // 00000000B6C4: D1CB0062 058A0D0E
	v_fma_f32 v99, v15, v6, v99                                // 00000000B6CC: D1CB0063 058E0D0F
	v_mfma_f32_16x16x32_fp8_fp8 v[12:15], a[104:105], a[72:73], 0// 00000000B6D4: D3F3000C 1A029168
	buffer_load_dword v42, v32, s[28:31], 0 offen              // 00000000B6DC: E0501000 80072A20
	v_mfma_f32_16x16x32_fp8_fp8 v[12:15], a[106:107], a[74:75], v[12:15]// 00000000B6E4: D3F3000C 1C32956A
	v_mfma_f32_16x16x32_fp8_fp8 v[12:15], a[108:109], a[76:77], v[12:15]// 00000000B6EC: D3F3000C 1C32996C
	buffer_load_dword v43, v33, s[28:31], 0 offen              // 00000000B6F4: E0501000 80072B21
	v_mfma_f32_16x16x32_fp8_fp8 v[12:15], a[110:111], a[78:79], v[12:15]// 00000000B6FC: D3F3000C 1C329D6E
	v_fma_f32 v80, v8, v4, v80                                 // 00000000B704: D1CB0050 05420908
	v_fma_f32 v81, v9, v4, v81                                 // 00000000B70C: D1CB0051 05460909
	v_fma_f32 v82, v10, v4, v82                                // 00000000B714: D1CB0052 054A090A
	v_fma_f32 v83, v11, v4, v83                                // 00000000B71C: D1CB0053 054E090B
	v_fma_f32 v100, v12, v4, v100                              // 00000000B724: D1CB0064 0592090C
	v_fma_f32 v101, v13, v4, v101                              // 00000000B72C: D1CB0065 0596090D
	v_fma_f32 v102, v14, v4, v102                              // 00000000B734: D1CB0066 059A090E
	v_fma_f32 v103, v15, v4, v103                              // 00000000B73C: D1CB0067 059E090F
	buffer_load_dword v44, v34, s[28:31], 0 offen              // 00000000B744: E0501000 80072C22
	s_waitcnt vmcnt(20)                                        // 00000000B74C: BF8C4F74
	s_barrier                                                  // 00000000B750: BF8A0000
	v_mul_f32_dpp v4, v29, v45 row_newbcast:0 row_mask:0xf bank_mask:0xf// 00000000B754: 0A085AFA FF01501D
	v_mfma_f32_16x16x32_fp8_fp8 v[8:11], a[112:113], a[40:41], 0// 00000000B75C: D3F30008 1A025170
	buffer_load_dword v27, v23, s[32:35], 0 offen              // 00000000B764: E0501000 80081B17
	buffer_load_dwordx4 a[96:99], v60, s[84:87], 0 offen       // 00000000B76C: E05C1000 8095603C
	v_mfma_f32_16x16x32_fp8_fp8 v[8:11], a[114:115], a[42:43], v[8:11]// 00000000B774: D3F30008 1C225572
	v_mfma_f32_16x16x32_fp8_fp8 v[8:11], a[116:117], a[44:45], v[8:11]// 00000000B77C: D3F30008 1C225974
	ds_read_b128 a[0:3], v2                                    // 00000000B784: DBFE0000 00000002
	ds_read_b128 a[4:7], v2 offset:64                          // 00000000B78C: DBFE0040 04000002
	v_mfma_f32_16x16x32_fp8_fp8 v[8:11], a[118:119], a[46:47], v[8:11]// 00000000B794: D3F30008 1C225D76
	v_mfma_f32_16x16x32_fp8_fp8 v[12:15], a[120:121], a[40:41], 0// 00000000B79C: D3F3000C 1A025178
	buffer_load_dwordx4 a[100:103], v60, s[84:87], 0 offen offset:1024// 00000000B7A4: E05C1400 8095643C
	v_mfma_f32_16x16x32_fp8_fp8 v[12:15], a[122:123], a[42:43], v[12:15]// 00000000B7AC: D3F3000C 1C32557A
	v_mfma_f32_16x16x32_fp8_fp8 v[12:15], a[124:125], a[44:45], v[12:15]// 00000000B7B4: D3F3000C 1C32597C
	ds_read_b128 a[8:11], v2 offset:512                        // 00000000B7BC: DBFE0200 08000002
	ds_read_b128 a[12:15], v2 offset:576                       // 00000000B7C4: DBFE0240 0C000002
	v_mfma_f32_16x16x32_fp8_fp8 v[12:15], a[126:127], a[46:47], v[12:15]// 00000000B7CC: D3F3000C 1C325D7E
	v_fma_f32 v104, v8, v4, v104                               // 00000000B7D4: D1CB0068 05A20908
	v_fma_f32 v105, v9, v4, v105                               // 00000000B7DC: D1CB0069 05A60909
	v_fma_f32 v106, v10, v4, v106                              // 00000000B7E4: D1CB006A 05AA090A
	v_fma_f32 v107, v11, v4, v107                              // 00000000B7EC: D1CB006B 05AE090B
	v_mul_f32_dpp v6, v29, v46 row_newbcast:0 row_mask:0xf bank_mask:0xf// 00000000B7F4: 0A0C5CFA FF01501D
	v_mfma_f32_16x16x32_fp8_fp8 v[8:11], a[112:113], a[48:49], 0// 00000000B7FC: D3F30008 1A026170
	buffer_load_dwordx4 a[104:107], v61, s[84:87], 0 offen     // 00000000B804: E05C1000 8095683D
	v_mfma_f32_16x16x32_fp8_fp8 v[8:11], a[114:115], a[50:51], v[8:11]// 00000000B80C: D3F30008 1C226572
	v_mfma_f32_16x16x32_fp8_fp8 v[8:11], a[116:117], a[52:53], v[8:11]// 00000000B814: D3F30008 1C226974
	ds_read_b128 a[16:19], v2 offset:1024                      // 00000000B81C: DBFE0400 10000002
	ds_read_b128 a[20:23], v2 offset:1088                      // 00000000B824: DBFE0440 14000002
	v_mfma_f32_16x16x32_fp8_fp8 v[8:11], a[118:119], a[54:55], v[8:11]// 00000000B82C: D3F30008 1C226D76
	v_fma_f32 v124, v12, v4, v124                              // 00000000B834: D1CB007C 05F2090C
	v_fma_f32 v125, v13, v4, v125                              // 00000000B83C: D1CB007D 05F6090D
	v_fma_f32 v126, v14, v4, v126                              // 00000000B844: D1CB007E 05FA090E
	v_fma_f32 v127, v15, v4, v127                              // 00000000B84C: D1CB007F 05FE090F
	v_mfma_f32_16x16x32_fp8_fp8 v[12:15], a[120:121], a[48:49], 0// 00000000B854: D3F3000C 1A026178
	buffer_load_dwordx4 a[108:111], v61, s[84:87], 0 offen offset:1024// 00000000B85C: E05C1400 80956C3D
	v_mfma_f32_16x16x32_fp8_fp8 v[12:15], a[122:123], a[50:51], v[12:15]// 00000000B864: D3F3000C 1C32657A
	v_mfma_f32_16x16x32_fp8_fp8 v[12:15], a[124:125], a[52:53], v[12:15]// 00000000B86C: D3F3000C 1C32697C
	ds_read_b128 a[24:27], v2 offset:1536                      // 00000000B874: DBFE0600 18000002
	ds_read_b128 a[28:31], v2 offset:1600                      // 00000000B87C: DBFE0640 1C000002
	v_mfma_f32_16x16x32_fp8_fp8 v[12:15], a[126:127], a[54:55], v[12:15]// 00000000B884: D3F3000C 1C326D7E
	v_fma_f32 v108, v8, v6, v108                               // 00000000B88C: D1CB006C 05B20D08
	v_fma_f32 v109, v9, v6, v109                               // 00000000B894: D1CB006D 05B60D09
	v_fma_f32 v110, v10, v6, v110                              // 00000000B89C: D1CB006E 05BA0D0A
	v_fma_f32 v111, v11, v6, v111                              // 00000000B8A4: D1CB006F 05BE0D0B
	v_mul_f32_dpp v4, v29, v47 row_newbcast:0 row_mask:0xf bank_mask:0xf// 00000000B8AC: 0A085EFA FF01501D
	v_mfma_f32_16x16x32_fp8_fp8 v[8:11], a[112:113], a[56:57], 0// 00000000B8B4: D3F30008 1A027170
	v_mfma_f32_16x16x32_fp8_fp8 v[8:11], a[114:115], a[58:59], v[8:11]// 00000000B8BC: D3F30008 1C227572
	v_mfma_f32_16x16x32_fp8_fp8 v[8:11], a[116:117], a[60:61], v[8:11]// 00000000B8C4: D3F30008 1C227974
	ds_read_b128 a[32:35], v2 offset:2048                      // 00000000B8CC: DBFE0800 20000002
	ds_read_b128 a[36:39], v2 offset:2112                      // 00000000B8D4: DBFE0840 24000002
	v_mfma_f32_16x16x32_fp8_fp8 v[8:11], a[118:119], a[62:63], v[8:11]// 00000000B8DC: D3F30008 1C227D76
	v_fma_f32 v128, v12, v6, v128                              // 00000000B8E4: D1CB0080 06020D0C
	v_fma_f32 v129, v13, v6, v129                              // 00000000B8EC: D1CB0081 06060D0D
	v_fma_f32 v130, v14, v6, v130                              // 00000000B8F4: D1CB0082 060A0D0E
	v_fma_f32 v131, v15, v6, v131                              // 00000000B8FC: D1CB0083 060E0D0F
	v_mfma_f32_16x16x32_fp8_fp8 v[12:15], a[120:121], a[56:57], 0// 00000000B904: D3F3000C 1A027178
	v_mfma_f32_16x16x32_fp8_fp8 v[12:15], a[122:123], a[58:59], v[12:15]// 00000000B90C: D3F3000C 1C32757A
	v_mfma_f32_16x16x32_fp8_fp8 v[12:15], a[124:125], a[60:61], v[12:15]// 00000000B914: D3F3000C 1C32797C
	v_mfma_f32_16x16x32_fp8_fp8 v[12:15], a[126:127], a[62:63], v[12:15]// 00000000B91C: D3F3000C 1C327D7E
	v_fma_f32 v112, v8, v4, v112                               // 00000000B924: D1CB0070 05C20908
	v_fma_f32 v113, v9, v4, v113                               // 00000000B92C: D1CB0071 05C60909
	v_fma_f32 v114, v10, v4, v114                              // 00000000B934: D1CB0072 05CA090A
	v_fma_f32 v115, v11, v4, v115                              // 00000000B93C: D1CB0073 05CE090B
	v_mul_f32_dpp v6, v29, v48 row_newbcast:0 row_mask:0xf bank_mask:0xf// 00000000B944: 0A0C60FA FF01501D
	v_mfma_f32_16x16x32_fp8_fp8 v[8:11], a[112:113], a[64:65], 0// 00000000B94C: D3F30008 1A028170
	v_mfma_f32_16x16x32_fp8_fp8 v[8:11], a[114:115], a[66:67], v[8:11]// 00000000B954: D3F30008 1C228572
	v_mfma_f32_16x16x32_fp8_fp8 v[8:11], a[116:117], a[68:69], v[8:11]// 00000000B95C: D3F30008 1C228974
	v_mfma_f32_16x16x32_fp8_fp8 v[8:11], a[118:119], a[70:71], v[8:11]// 00000000B964: D3F30008 1C228D76
	v_fma_f32 v132, v12, v4, v132                              // 00000000B96C: D1CB0084 0612090C
	v_fma_f32 v133, v13, v4, v133                              // 00000000B974: D1CB0085 0616090D
	v_fma_f32 v134, v14, v4, v134                              // 00000000B97C: D1CB0086 061A090E
	v_fma_f32 v135, v15, v4, v135                              // 00000000B984: D1CB0087 061E090F
	v_mfma_f32_16x16x32_fp8_fp8 v[12:15], a[120:121], a[64:65], 0// 00000000B98C: D3F3000C 1A028178
	v_mfma_f32_16x16x32_fp8_fp8 v[12:15], a[122:123], a[66:67], v[12:15]// 00000000B994: D3F3000C 1C32857A
	v_mfma_f32_16x16x32_fp8_fp8 v[12:15], a[124:125], a[68:69], v[12:15]// 00000000B99C: D3F3000C 1C32897C
	v_mfma_f32_16x16x32_fp8_fp8 v[12:15], a[126:127], a[70:71], v[12:15]// 00000000B9A4: D3F3000C 1C328D7E
	v_fma_f32 v116, v8, v6, v116                               // 00000000B9AC: D1CB0074 05D20D08
	v_fma_f32 v117, v9, v6, v117                               // 00000000B9B4: D1CB0075 05D60D09
	v_fma_f32 v118, v10, v6, v118                              // 00000000B9BC: D1CB0076 05DA0D0A
	v_fma_f32 v119, v11, v6, v119                              // 00000000B9C4: D1CB0077 05DE0D0B
	v_mul_f32_dpp v4, v29, v49 row_newbcast:0 row_mask:0xf bank_mask:0xf// 00000000B9CC: 0A0862FA FF01501D
	v_mfma_f32_16x16x32_fp8_fp8 v[8:11], a[112:113], a[72:73], 0// 00000000B9D4: D3F30008 1A029170
	s_add_u32 s60, 0x180, s80                                  // 00000000B9DC: 803C50FF 00000180
	s_cmp_lt_u32 s60, s81                                      // 00000000B9E4: BF0A513C
	s_cselect_b32 s57, s57, 0                                  // 00000000B9E8: 85398039
	s_cselect_b32 s3, s3, 0                                    // 00000000B9EC: 85038003
	v_mfma_f32_16x16x32_fp8_fp8 v[8:11], a[114:115], a[74:75], v[8:11]// 00000000B9F0: D3F30008 1C229572
	s_add_u32 s60, 0x100, s80                                  // 00000000B9F8: 803C50FF 00000100
	s_cmp_lt_u32 s60, s81                                      // 00000000BA00: BF0A513C
	s_cselect_b32 s58, s58, 0                                  // 00000000BA04: 853A803A
	v_mfma_f32_16x16x32_fp8_fp8 v[8:11], a[116:117], a[76:77], v[8:11]// 00000000BA08: D3F30008 1C229974
	s_add_u32 s60, 0x100, s80                                  // 00000000BA10: 803C50FF 00000100
	s_cmp_lt_u32 s60, s81                                      // 00000000BA18: BF0A513C
	s_cselect_b32 s83, s83, 0                                  // 00000000BA1C: 85538053
	s_cselect_b32 s4, s4, 0                                    // 00000000BA20: 85048004
	v_mfma_f32_16x16x32_fp8_fp8 v[8:11], a[118:119], a[78:79], v[8:11]// 00000000BA24: D3F30008 1C229D76
	s_add_u32 s24, s58, s24                                    // 00000000BA2C: 8018183A
	s_addc_u32 s25, 0, s25                                     // 00000000BA30: 82191980
	v_fma_f32 v136, v12, v6, v136                              // 00000000BA34: D1CB0088 06220D0C
	v_fma_f32 v137, v13, v6, v137                              // 00000000BA3C: D1CB0089 06260D0D
	v_fma_f32 v138, v14, v6, v138                              // 00000000BA44: D1CB008A 062A0D0E
	v_fma_f32 v139, v15, v6, v139                              // 00000000BA4C: D1CB008B 062E0D0F
	v_mfma_f32_16x16x32_fp8_fp8 v[12:15], a[120:121], a[72:73], 0// 00000000BA54: D3F3000C 1A029178
	s_add_u32 s20, s57, s20                                    // 00000000BA5C: 80141439
	s_addc_u32 s21, 0, s21                                     // 00000000BA60: 82151580
	s_add_u32 s28, s3, s28                                     // 00000000BA64: 801C1C03
	s_addc_u32 s29, 0, s29                                     // 00000000BA68: 821D1D80
	v_mfma_f32_16x16x32_fp8_fp8 v[12:15], a[122:123], a[74:75], v[12:15]// 00000000BA6C: D3F3000C 1C32957A
	s_add_u32 s84, s83, s84                                    // 00000000BA74: 80545453
	s_addc_u32 s85, 0, s85                                     // 00000000BA78: 82555580
	v_mfma_f32_16x16x32_fp8_fp8 v[12:15], a[124:125], a[76:77], v[12:15]// 00000000BA7C: D3F3000C 1C32997C
	s_add_u32 s32, s4, s32                                     // 00000000BA84: 80202004
	s_addc_u32 s33, 0, s33                                     // 00000000BA88: 82212180
	v_mfma_f32_16x16x32_fp8_fp8 v[12:15], a[126:127], a[78:79], v[12:15]// 00000000BA8C: D3F3000C 1C329D7E
	v_fma_f32 v120, v8, v4, v120                               // 00000000BA94: D1CB0078 05E20908
	v_fma_f32 v121, v9, v4, v121                               // 00000000BA9C: D1CB0079 05E60909
	v_fma_f32 v122, v10, v4, v122                              // 00000000BAA4: D1CB007A 05EA090A
	v_fma_f32 v123, v11, v4, v123                              // 00000000BAAC: D1CB007B 05EE090B
	v_fma_f32 v140, v12, v4, v140                              // 00000000BAB4: D1CB008C 0632090C
	v_fma_f32 v141, v13, v4, v141                              // 00000000BABC: D1CB008D 0636090D
	v_fma_f32 v142, v14, v4, v142                              // 00000000BAC4: D1CB008E 063A090E
	v_fma_f32 v143, v15, v4, v143                              // 00000000BACC: D1CB008F 063E090F
	s_addk_i32 s80, 0x80                                       // 00000000BAD4: B7500080
	s_cmp_lt_i32 s80, s81                                      // 00000000BAD8: BF045150
	s_cbranch_scc0 label_243C                                  // 00000000BADC: BF840001
	s_branch label_1979                                        // 00000000BAE0: BF82F53D

000000000000bae4 <label_243C>:
	s_cmp_eq_u32 s88, 0                                        // 00000000BAE4: BF068058
	s_cbranch_scc0 label_2B0A                                  // 00000000BAE8: BF8406CC
	s_cmp_eq_u32 s89, 0                                        // 00000000BAEC: BF068059
	s_cbranch_scc1 label_25D5                                  // 00000000BAF0: BF850195
	v_mov_b32_e32 v8, v1                                       // 00000000BAF4: 7E100301
	v_mov_b32_e32 v9, v1                                       // 00000000BAF8: 7E120301
	s_mov_b32 s60, s6                                          // 00000000BAFC: BEBC0006
	s_mov_b32 s61, s6                                          // 00000000BB00: BEBD0006
	v_pk_mul_f32 v[4:5], v[64:65], v[64:65]                    // 00000000BB04: D3B14004 18028140
	v_pk_mul_f32 v[6:7], v[66:67], v[66:67]                    // 00000000BB0C: D3B14006 18028542
	v_pk_fma_f32 v[4:5], v[4:5], s[78:79], v[8:9]              // 00000000BB14: D3B04004 1C209D04
	v_pk_fma_f32 v[6:7], v[6:7], s[78:79], v[8:9]              // 00000000BB1C: D3B04006 1C209D06
	v_pk_mul_f32 v[4:5], v[4:5], v[64:65]                      // 00000000BB24: D3B14004 18028104
	v_pk_mul_f32 v[6:7], v[6:7], v[66:67]                      // 00000000BB2C: D3B14006 18028506
	v_pk_mul_f32 v[4:5], v[4:5], s[60:61]                      // 00000000BB34: D3B14004 18007904
	v_pk_mul_f32 v[6:7], v[6:7], s[60:61]                      // 00000000BB3C: D3B14006 18007906
	v_exp_f32_e32 v4, v4                                       // 00000000BB44: 7E084104
	v_exp_f32_e32 v5, v5                                       // 00000000BB48: 7E0A4105
	v_exp_f32_e32 v6, v6                                       // 00000000BB4C: 7E0C4106
	v_exp_f32_e32 v7, v7                                       // 00000000BB50: 7E0E4107
	v_add_f32_e64 v4, v4, 1.0                                  // 00000000BB54: D1010004 0001E504
	v_add_f32_e64 v5, v5, 1.0                                  // 00000000BB5C: D1010005 0001E505
	v_add_f32_e64 v6, v6, 1.0                                  // 00000000BB64: D1010006 0001E506
	v_add_f32_e64 v7, v7, 1.0                                  // 00000000BB6C: D1010007 0001E507
	v_rcp_f32_e32 v4, v4                                       // 00000000BB74: 7E084504
	v_rcp_f32_e32 v5, v5                                       // 00000000BB78: 7E0A4505
	v_rcp_f32_e32 v6, v6                                       // 00000000BB7C: 7E0C4506
	v_rcp_f32_e32 v7, v7                                       // 00000000BB80: 7E0E4507
	v_mul_f32_e32 v64, v64, v4                                 // 00000000BB84: 0A800940
	v_mul_f32_e32 v65, v65, v5                                 // 00000000BB88: 0A820B41
	v_mul_f32_e32 v66, v66, v6                                 // 00000000BB8C: 0A840D42
	v_mul_f32_e32 v67, v67, v7                                 // 00000000BB90: 0A860F43
	v_mul_f32_e32 v64, v64, v104                               // 00000000BB94: 0A80D140
	v_mul_f32_e32 v65, v65, v105                               // 00000000BB98: 0A82D341
	v_mul_f32_e32 v66, v66, v106                               // 00000000BB9C: 0A84D542
	v_mul_f32_e32 v67, v67, v107                               // 00000000BBA0: 0A86D743
	v_pk_mul_f32 v[4:5], v[68:69], v[68:69]                    // 00000000BBA4: D3B14004 18028944
	v_pk_mul_f32 v[6:7], v[70:71], v[70:71]                    // 00000000BBAC: D3B14006 18028D46
	v_pk_fma_f32 v[4:5], v[4:5], s[78:79], v[8:9]              // 00000000BBB4: D3B04004 1C209D04
	v_pk_fma_f32 v[6:7], v[6:7], s[78:79], v[8:9]              // 00000000BBBC: D3B04006 1C209D06
	v_pk_mul_f32 v[4:5], v[4:5], v[68:69]                      // 00000000BBC4: D3B14004 18028904
	v_pk_mul_f32 v[6:7], v[6:7], v[70:71]                      // 00000000BBCC: D3B14006 18028D06
	v_pk_mul_f32 v[4:5], v[4:5], s[60:61]                      // 00000000BBD4: D3B14004 18007904
	v_pk_mul_f32 v[6:7], v[6:7], s[60:61]                      // 00000000BBDC: D3B14006 18007906
	v_exp_f32_e32 v4, v4                                       // 00000000BBE4: 7E084104
	v_exp_f32_e32 v5, v5                                       // 00000000BBE8: 7E0A4105
	v_exp_f32_e32 v6, v6                                       // 00000000BBEC: 7E0C4106
	v_exp_f32_e32 v7, v7                                       // 00000000BBF0: 7E0E4107
	v_add_f32_e64 v4, v4, 1.0                                  // 00000000BBF4: D1010004 0001E504
	v_add_f32_e64 v5, v5, 1.0                                  // 00000000BBFC: D1010005 0001E505
	v_add_f32_e64 v6, v6, 1.0                                  // 00000000BC04: D1010006 0001E506
	v_add_f32_e64 v7, v7, 1.0                                  // 00000000BC0C: D1010007 0001E507
	v_rcp_f32_e32 v4, v4                                       // 00000000BC14: 7E084504
	v_rcp_f32_e32 v5, v5                                       // 00000000BC18: 7E0A4505
	v_rcp_f32_e32 v6, v6                                       // 00000000BC1C: 7E0C4506
	v_rcp_f32_e32 v7, v7                                       // 00000000BC20: 7E0E4507
	v_mul_f32_e32 v68, v68, v4                                 // 00000000BC24: 0A880944
	v_mul_f32_e32 v69, v69, v5                                 // 00000000BC28: 0A8A0B45
	v_mul_f32_e32 v70, v70, v6                                 // 00000000BC2C: 0A8C0D46
	v_mul_f32_e32 v71, v71, v7                                 // 00000000BC30: 0A8E0F47
	v_mul_f32_e32 v68, v68, v108                               // 00000000BC34: 0A88D944
	v_mul_f32_e32 v69, v69, v109                               // 00000000BC38: 0A8ADB45
	v_mul_f32_e32 v70, v70, v110                               // 00000000BC3C: 0A8CDD46
	v_mul_f32_e32 v71, v71, v111                               // 00000000BC40: 0A8EDF47
	v_pk_mul_f32 v[4:5], v[72:73], v[72:73]                    // 00000000BC44: D3B14004 18029148
	v_pk_mul_f32 v[6:7], v[74:75], v[74:75]                    // 00000000BC4C: D3B14006 1802954A
	v_pk_fma_f32 v[4:5], v[4:5], s[78:79], v[8:9]              // 00000000BC54: D3B04004 1C209D04
	v_pk_fma_f32 v[6:7], v[6:7], s[78:79], v[8:9]              // 00000000BC5C: D3B04006 1C209D06
	v_pk_mul_f32 v[4:5], v[4:5], v[72:73]                      // 00000000BC64: D3B14004 18029104
	v_pk_mul_f32 v[6:7], v[6:7], v[74:75]                      // 00000000BC6C: D3B14006 18029506
	v_pk_mul_f32 v[4:5], v[4:5], s[60:61]                      // 00000000BC74: D3B14004 18007904
	v_pk_mul_f32 v[6:7], v[6:7], s[60:61]                      // 00000000BC7C: D3B14006 18007906
	v_exp_f32_e32 v4, v4                                       // 00000000BC84: 7E084104
	v_exp_f32_e32 v5, v5                                       // 00000000BC88: 7E0A4105
	v_exp_f32_e32 v6, v6                                       // 00000000BC8C: 7E0C4106
	v_exp_f32_e32 v7, v7                                       // 00000000BC90: 7E0E4107
	v_add_f32_e64 v4, v4, 1.0                                  // 00000000BC94: D1010004 0001E504
	v_add_f32_e64 v5, v5, 1.0                                  // 00000000BC9C: D1010005 0001E505
	v_add_f32_e64 v6, v6, 1.0                                  // 00000000BCA4: D1010006 0001E506
	v_add_f32_e64 v7, v7, 1.0                                  // 00000000BCAC: D1010007 0001E507
	v_rcp_f32_e32 v4, v4                                       // 00000000BCB4: 7E084504
	v_rcp_f32_e32 v5, v5                                       // 00000000BCB8: 7E0A4505
	v_rcp_f32_e32 v6, v6                                       // 00000000BCBC: 7E0C4506
	v_rcp_f32_e32 v7, v7                                       // 00000000BCC0: 7E0E4507
	v_mul_f32_e32 v72, v72, v4                                 // 00000000BCC4: 0A900948
	v_mul_f32_e32 v73, v73, v5                                 // 00000000BCC8: 0A920B49
	v_mul_f32_e32 v74, v74, v6                                 // 00000000BCCC: 0A940D4A
	v_mul_f32_e32 v75, v75, v7                                 // 00000000BCD0: 0A960F4B
	v_mul_f32_e32 v72, v72, v112                               // 00000000BCD4: 0A90E148
	v_mul_f32_e32 v73, v73, v113                               // 00000000BCD8: 0A92E349
	v_mul_f32_e32 v74, v74, v114                               // 00000000BCDC: 0A94E54A
	v_mul_f32_e32 v75, v75, v115                               // 00000000BCE0: 0A96E74B
	v_pk_mul_f32 v[4:5], v[76:77], v[76:77]                    // 00000000BCE4: D3B14004 1802994C
	v_pk_mul_f32 v[6:7], v[78:79], v[78:79]                    // 00000000BCEC: D3B14006 18029D4E
	v_pk_fma_f32 v[4:5], v[4:5], s[78:79], v[8:9]              // 00000000BCF4: D3B04004 1C209D04
	v_pk_fma_f32 v[6:7], v[6:7], s[78:79], v[8:9]              // 00000000BCFC: D3B04006 1C209D06
	v_pk_mul_f32 v[4:5], v[4:5], v[76:77]                      // 00000000BD04: D3B14004 18029904
	v_pk_mul_f32 v[6:7], v[6:7], v[78:79]                      // 00000000BD0C: D3B14006 18029D06
	v_pk_mul_f32 v[4:5], v[4:5], s[60:61]                      // 00000000BD14: D3B14004 18007904
	v_pk_mul_f32 v[6:7], v[6:7], s[60:61]                      // 00000000BD1C: D3B14006 18007906
	v_exp_f32_e32 v4, v4                                       // 00000000BD24: 7E084104
	v_exp_f32_e32 v5, v5                                       // 00000000BD28: 7E0A4105
	v_exp_f32_e32 v6, v6                                       // 00000000BD2C: 7E0C4106
	v_exp_f32_e32 v7, v7                                       // 00000000BD30: 7E0E4107
	v_add_f32_e64 v4, v4, 1.0                                  // 00000000BD34: D1010004 0001E504
	v_add_f32_e64 v5, v5, 1.0                                  // 00000000BD3C: D1010005 0001E505
	v_add_f32_e64 v6, v6, 1.0                                  // 00000000BD44: D1010006 0001E506
	v_add_f32_e64 v7, v7, 1.0                                  // 00000000BD4C: D1010007 0001E507
	v_rcp_f32_e32 v4, v4                                       // 00000000BD54: 7E084504
	v_rcp_f32_e32 v5, v5                                       // 00000000BD58: 7E0A4505
	v_rcp_f32_e32 v6, v6                                       // 00000000BD5C: 7E0C4506
	v_rcp_f32_e32 v7, v7                                       // 00000000BD60: 7E0E4507
	v_mul_f32_e32 v76, v76, v4                                 // 00000000BD64: 0A98094C
	v_mul_f32_e32 v77, v77, v5                                 // 00000000BD68: 0A9A0B4D
	v_mul_f32_e32 v78, v78, v6                                 // 00000000BD6C: 0A9C0D4E
	v_mul_f32_e32 v79, v79, v7                                 // 00000000BD70: 0A9E0F4F
	v_mul_f32_e32 v76, v76, v116                               // 00000000BD74: 0A98E94C
	v_mul_f32_e32 v77, v77, v117                               // 00000000BD78: 0A9AEB4D
	v_mul_f32_e32 v78, v78, v118                               // 00000000BD7C: 0A9CED4E
	v_mul_f32_e32 v79, v79, v119                               // 00000000BD80: 0A9EEF4F
	v_pk_mul_f32 v[4:5], v[80:81], v[80:81]                    // 00000000BD84: D3B14004 1802A150
	v_pk_mul_f32 v[6:7], v[82:83], v[82:83]                    // 00000000BD8C: D3B14006 1802A552
	v_pk_fma_f32 v[4:5], v[4:5], s[78:79], v[8:9]              // 00000000BD94: D3B04004 1C209D04
	v_pk_fma_f32 v[6:7], v[6:7], s[78:79], v[8:9]              // 00000000BD9C: D3B04006 1C209D06
	v_pk_mul_f32 v[4:5], v[4:5], v[80:81]                      // 00000000BDA4: D3B14004 1802A104
	v_pk_mul_f32 v[6:7], v[6:7], v[82:83]                      // 00000000BDAC: D3B14006 1802A506
	v_pk_mul_f32 v[4:5], v[4:5], s[60:61]                      // 00000000BDB4: D3B14004 18007904
	v_pk_mul_f32 v[6:7], v[6:7], s[60:61]                      // 00000000BDBC: D3B14006 18007906
	v_exp_f32_e32 v4, v4                                       // 00000000BDC4: 7E084104
	v_exp_f32_e32 v5, v5                                       // 00000000BDC8: 7E0A4105
	v_exp_f32_e32 v6, v6                                       // 00000000BDCC: 7E0C4106
	v_exp_f32_e32 v7, v7                                       // 00000000BDD0: 7E0E4107
	v_add_f32_e64 v4, v4, 1.0                                  // 00000000BDD4: D1010004 0001E504
	v_add_f32_e64 v5, v5, 1.0                                  // 00000000BDDC: D1010005 0001E505
	v_add_f32_e64 v6, v6, 1.0                                  // 00000000BDE4: D1010006 0001E506
	v_add_f32_e64 v7, v7, 1.0                                  // 00000000BDEC: D1010007 0001E507
	v_rcp_f32_e32 v4, v4                                       // 00000000BDF4: 7E084504
	v_rcp_f32_e32 v5, v5                                       // 00000000BDF8: 7E0A4505
	v_rcp_f32_e32 v6, v6                                       // 00000000BDFC: 7E0C4506
	v_rcp_f32_e32 v7, v7                                       // 00000000BE00: 7E0E4507
	v_mul_f32_e32 v80, v80, v4                                 // 00000000BE04: 0AA00950
	v_mul_f32_e32 v81, v81, v5                                 // 00000000BE08: 0AA20B51
	v_mul_f32_e32 v82, v82, v6                                 // 00000000BE0C: 0AA40D52
	v_mul_f32_e32 v83, v83, v7                                 // 00000000BE10: 0AA60F53
	v_mul_f32_e32 v80, v80, v120                               // 00000000BE14: 0AA0F150
	v_mul_f32_e32 v81, v81, v121                               // 00000000BE18: 0AA2F351
	v_mul_f32_e32 v82, v82, v122                               // 00000000BE1C: 0AA4F552
	v_mul_f32_e32 v83, v83, v123                               // 00000000BE20: 0AA6F753
	v_pk_mul_f32 v[4:5], v[84:85], v[84:85]                    // 00000000BE24: D3B14004 1802A954
	v_pk_mul_f32 v[6:7], v[86:87], v[86:87]                    // 00000000BE2C: D3B14006 1802AD56
	v_pk_fma_f32 v[4:5], v[4:5], s[78:79], v[8:9]              // 00000000BE34: D3B04004 1C209D04
	v_pk_fma_f32 v[6:7], v[6:7], s[78:79], v[8:9]              // 00000000BE3C: D3B04006 1C209D06
	v_pk_mul_f32 v[4:5], v[4:5], v[84:85]                      // 00000000BE44: D3B14004 1802A904
	v_pk_mul_f32 v[6:7], v[6:7], v[86:87]                      // 00000000BE4C: D3B14006 1802AD06
	v_pk_mul_f32 v[4:5], v[4:5], s[60:61]                      // 00000000BE54: D3B14004 18007904
	v_pk_mul_f32 v[6:7], v[6:7], s[60:61]                      // 00000000BE5C: D3B14006 18007906
	v_exp_f32_e32 v4, v4                                       // 00000000BE64: 7E084104
	v_exp_f32_e32 v5, v5                                       // 00000000BE68: 7E0A4105
	v_exp_f32_e32 v6, v6                                       // 00000000BE6C: 7E0C4106
	v_exp_f32_e32 v7, v7                                       // 00000000BE70: 7E0E4107
	v_add_f32_e64 v4, v4, 1.0                                  // 00000000BE74: D1010004 0001E504
	v_add_f32_e64 v5, v5, 1.0                                  // 00000000BE7C: D1010005 0001E505
	v_add_f32_e64 v6, v6, 1.0                                  // 00000000BE84: D1010006 0001E506
	v_add_f32_e64 v7, v7, 1.0                                  // 00000000BE8C: D1010007 0001E507
	v_rcp_f32_e32 v4, v4                                       // 00000000BE94: 7E084504
	v_rcp_f32_e32 v5, v5                                       // 00000000BE98: 7E0A4505
	v_rcp_f32_e32 v6, v6                                       // 00000000BE9C: 7E0C4506
	v_rcp_f32_e32 v7, v7                                       // 00000000BEA0: 7E0E4507
	v_mul_f32_e32 v84, v84, v4                                 // 00000000BEA4: 0AA80954
	v_mul_f32_e32 v85, v85, v5                                 // 00000000BEA8: 0AAA0B55
	v_mul_f32_e32 v86, v86, v6                                 // 00000000BEAC: 0AAC0D56
	v_mul_f32_e32 v87, v87, v7                                 // 00000000BEB0: 0AAE0F57
	v_mul_f32_e32 v84, v84, v124                               // 00000000BEB4: 0AA8F954
	v_mul_f32_e32 v85, v85, v125                               // 00000000BEB8: 0AAAFB55
	v_mul_f32_e32 v86, v86, v126                               // 00000000BEBC: 0AACFD56
	v_mul_f32_e32 v87, v87, v127                               // 00000000BEC0: 0AAEFF57
	v_pk_mul_f32 v[4:5], v[88:89], v[88:89]                    // 00000000BEC4: D3B14004 1802B158
	v_pk_mul_f32 v[6:7], v[90:91], v[90:91]                    // 00000000BECC: D3B14006 1802B55A
	v_pk_fma_f32 v[4:5], v[4:5], s[78:79], v[8:9]              // 00000000BED4: D3B04004 1C209D04
	v_pk_fma_f32 v[6:7], v[6:7], s[78:79], v[8:9]              // 00000000BEDC: D3B04006 1C209D06
	v_pk_mul_f32 v[4:5], v[4:5], v[88:89]                      // 00000000BEE4: D3B14004 1802B104
	v_pk_mul_f32 v[6:7], v[6:7], v[90:91]                      // 00000000BEEC: D3B14006 1802B506
	v_pk_mul_f32 v[4:5], v[4:5], s[60:61]                      // 00000000BEF4: D3B14004 18007904
	v_pk_mul_f32 v[6:7], v[6:7], s[60:61]                      // 00000000BEFC: D3B14006 18007906
	v_exp_f32_e32 v4, v4                                       // 00000000BF04: 7E084104
	v_exp_f32_e32 v5, v5                                       // 00000000BF08: 7E0A4105
	v_exp_f32_e32 v6, v6                                       // 00000000BF0C: 7E0C4106
	v_exp_f32_e32 v7, v7                                       // 00000000BF10: 7E0E4107
	v_add_f32_e64 v4, v4, 1.0                                  // 00000000BF14: D1010004 0001E504
	v_add_f32_e64 v5, v5, 1.0                                  // 00000000BF1C: D1010005 0001E505
	v_add_f32_e64 v6, v6, 1.0                                  // 00000000BF24: D1010006 0001E506
	v_add_f32_e64 v7, v7, 1.0                                  // 00000000BF2C: D1010007 0001E507
	v_rcp_f32_e32 v4, v4                                       // 00000000BF34: 7E084504
	v_rcp_f32_e32 v5, v5                                       // 00000000BF38: 7E0A4505
	v_rcp_f32_e32 v6, v6                                       // 00000000BF3C: 7E0C4506
	v_rcp_f32_e32 v7, v7                                       // 00000000BF40: 7E0E4507
	v_mul_f32_e32 v88, v88, v4                                 // 00000000BF44: 0AB00958
	v_mul_f32_e32 v89, v89, v5                                 // 00000000BF48: 0AB20B59
	v_mul_f32_e32 v90, v90, v6                                 // 00000000BF4C: 0AB40D5A
	v_mul_f32_e32 v91, v91, v7                                 // 00000000BF50: 0AB60F5B
	v_mul_f32_e32 v88, v88, v128                               // 00000000BF54: 0AB10158
	v_mul_f32_e32 v89, v89, v129                               // 00000000BF58: 0AB30359
	v_mul_f32_e32 v90, v90, v130                               // 00000000BF5C: 0AB5055A
	v_mul_f32_e32 v91, v91, v131                               // 00000000BF60: 0AB7075B
	v_pk_mul_f32 v[4:5], v[92:93], v[92:93]                    // 00000000BF64: D3B14004 1802B95C
	v_pk_mul_f32 v[6:7], v[94:95], v[94:95]                    // 00000000BF6C: D3B14006 1802BD5E
	v_pk_fma_f32 v[4:5], v[4:5], s[78:79], v[8:9]              // 00000000BF74: D3B04004 1C209D04
	v_pk_fma_f32 v[6:7], v[6:7], s[78:79], v[8:9]              // 00000000BF7C: D3B04006 1C209D06
	v_pk_mul_f32 v[4:5], v[4:5], v[92:93]                      // 00000000BF84: D3B14004 1802B904
	v_pk_mul_f32 v[6:7], v[6:7], v[94:95]                      // 00000000BF8C: D3B14006 1802BD06
	v_pk_mul_f32 v[4:5], v[4:5], s[60:61]                      // 00000000BF94: D3B14004 18007904
	v_pk_mul_f32 v[6:7], v[6:7], s[60:61]                      // 00000000BF9C: D3B14006 18007906
	v_exp_f32_e32 v4, v4                                       // 00000000BFA4: 7E084104
	v_exp_f32_e32 v5, v5                                       // 00000000BFA8: 7E0A4105
	v_exp_f32_e32 v6, v6                                       // 00000000BFAC: 7E0C4106
	v_exp_f32_e32 v7, v7                                       // 00000000BFB0: 7E0E4107
	v_add_f32_e64 v4, v4, 1.0                                  // 00000000BFB4: D1010004 0001E504
	v_add_f32_e64 v5, v5, 1.0                                  // 00000000BFBC: D1010005 0001E505
	v_add_f32_e64 v6, v6, 1.0                                  // 00000000BFC4: D1010006 0001E506
	v_add_f32_e64 v7, v7, 1.0                                  // 00000000BFCC: D1010007 0001E507
	v_rcp_f32_e32 v4, v4                                       // 00000000BFD4: 7E084504
	v_rcp_f32_e32 v5, v5                                       // 00000000BFD8: 7E0A4505
	v_rcp_f32_e32 v6, v6                                       // 00000000BFDC: 7E0C4506
	v_rcp_f32_e32 v7, v7                                       // 00000000BFE0: 7E0E4507
	v_mul_f32_e32 v92, v92, v4                                 // 00000000BFE4: 0AB8095C
	v_mul_f32_e32 v93, v93, v5                                 // 00000000BFE8: 0ABA0B5D
	v_mul_f32_e32 v94, v94, v6                                 // 00000000BFEC: 0ABC0D5E
	v_mul_f32_e32 v95, v95, v7                                 // 00000000BFF0: 0ABE0F5F
	v_mul_f32_e32 v92, v92, v132                               // 00000000BFF4: 0AB9095C
	v_mul_f32_e32 v93, v93, v133                               // 00000000BFF8: 0ABB0B5D
	v_mul_f32_e32 v94, v94, v134                               // 00000000BFFC: 0ABD0D5E
	v_mul_f32_e32 v95, v95, v135                               // 00000000C000: 0ABF0F5F
	v_pk_mul_f32 v[4:5], v[96:97], v[96:97]                    // 00000000C004: D3B14004 1802C160
	v_pk_mul_f32 v[6:7], v[98:99], v[98:99]                    // 00000000C00C: D3B14006 1802C562
	v_pk_fma_f32 v[4:5], v[4:5], s[78:79], v[8:9]              // 00000000C014: D3B04004 1C209D04
	v_pk_fma_f32 v[6:7], v[6:7], s[78:79], v[8:9]              // 00000000C01C: D3B04006 1C209D06
	v_pk_mul_f32 v[4:5], v[4:5], v[96:97]                      // 00000000C024: D3B14004 1802C104
	v_pk_mul_f32 v[6:7], v[6:7], v[98:99]                      // 00000000C02C: D3B14006 1802C506
	v_pk_mul_f32 v[4:5], v[4:5], s[60:61]                      // 00000000C034: D3B14004 18007904
	v_pk_mul_f32 v[6:7], v[6:7], s[60:61]                      // 00000000C03C: D3B14006 18007906
	v_exp_f32_e32 v4, v4                                       // 00000000C044: 7E084104
	v_exp_f32_e32 v5, v5                                       // 00000000C048: 7E0A4105
	v_exp_f32_e32 v6, v6                                       // 00000000C04C: 7E0C4106
	v_exp_f32_e32 v7, v7                                       // 00000000C050: 7E0E4107
	v_add_f32_e64 v4, v4, 1.0                                  // 00000000C054: D1010004 0001E504
	v_add_f32_e64 v5, v5, 1.0                                  // 00000000C05C: D1010005 0001E505
	v_add_f32_e64 v6, v6, 1.0                                  // 00000000C064: D1010006 0001E506
	v_add_f32_e64 v7, v7, 1.0                                  // 00000000C06C: D1010007 0001E507
	v_rcp_f32_e32 v4, v4                                       // 00000000C074: 7E084504
	v_rcp_f32_e32 v5, v5                                       // 00000000C078: 7E0A4505
	v_rcp_f32_e32 v6, v6                                       // 00000000C07C: 7E0C4506
	v_rcp_f32_e32 v7, v7                                       // 00000000C080: 7E0E4507
	v_mul_f32_e32 v96, v96, v4                                 // 00000000C084: 0AC00960
	v_mul_f32_e32 v97, v97, v5                                 // 00000000C088: 0AC20B61
	v_mul_f32_e32 v98, v98, v6                                 // 00000000C08C: 0AC40D62
	v_mul_f32_e32 v99, v99, v7                                 // 00000000C090: 0AC60F63
	v_mul_f32_e32 v96, v96, v136                               // 00000000C094: 0AC11160
	v_mul_f32_e32 v97, v97, v137                               // 00000000C098: 0AC31361
	v_mul_f32_e32 v98, v98, v138                               // 00000000C09C: 0AC51562
	v_mul_f32_e32 v99, v99, v139                               // 00000000C0A0: 0AC71763
	v_pk_mul_f32 v[4:5], v[100:101], v[100:101]                // 00000000C0A4: D3B14004 1802C964
	v_pk_mul_f32 v[6:7], v[102:103], v[102:103]                // 00000000C0AC: D3B14006 1802CD66
	v_pk_fma_f32 v[4:5], v[4:5], s[78:79], v[8:9]              // 00000000C0B4: D3B04004 1C209D04
	v_pk_fma_f32 v[6:7], v[6:7], s[78:79], v[8:9]              // 00000000C0BC: D3B04006 1C209D06
	v_pk_mul_f32 v[4:5], v[4:5], v[100:101]                    // 00000000C0C4: D3B14004 1802C904
	v_pk_mul_f32 v[6:7], v[6:7], v[102:103]                    // 00000000C0CC: D3B14006 1802CD06
	v_pk_mul_f32 v[4:5], v[4:5], s[60:61]                      // 00000000C0D4: D3B14004 18007904
	v_pk_mul_f32 v[6:7], v[6:7], s[60:61]                      // 00000000C0DC: D3B14006 18007906
	v_exp_f32_e32 v4, v4                                       // 00000000C0E4: 7E084104
	v_exp_f32_e32 v5, v5                                       // 00000000C0E8: 7E0A4105
	v_exp_f32_e32 v6, v6                                       // 00000000C0EC: 7E0C4106
	v_exp_f32_e32 v7, v7                                       // 00000000C0F0: 7E0E4107
	v_add_f32_e64 v4, v4, 1.0                                  // 00000000C0F4: D1010004 0001E504
	v_add_f32_e64 v5, v5, 1.0                                  // 00000000C0FC: D1010005 0001E505
	v_add_f32_e64 v6, v6, 1.0                                  // 00000000C104: D1010006 0001E506
	v_add_f32_e64 v7, v7, 1.0                                  // 00000000C10C: D1010007 0001E507
	v_rcp_f32_e32 v4, v4                                       // 00000000C114: 7E084504
	v_rcp_f32_e32 v5, v5                                       // 00000000C118: 7E0A4505
	v_rcp_f32_e32 v6, v6                                       // 00000000C11C: 7E0C4506
	v_rcp_f32_e32 v7, v7                                       // 00000000C120: 7E0E4507
	v_mul_f32_e32 v100, v100, v4                               // 00000000C124: 0AC80964
	v_mul_f32_e32 v101, v101, v5                               // 00000000C128: 0ACA0B65
	v_mul_f32_e32 v102, v102, v6                               // 00000000C12C: 0ACC0D66
	v_mul_f32_e32 v103, v103, v7                               // 00000000C130: 0ACE0F67
	v_mul_f32_e32 v100, v100, v140                             // 00000000C134: 0AC91964
	v_mul_f32_e32 v101, v101, v141                             // 00000000C138: 0ACB1B65
	v_mul_f32_e32 v102, v102, v142                             // 00000000C13C: 0ACD1D66
	v_mul_f32_e32 v103, v103, v143                             // 00000000C140: 0ACF1F67
	s_branch label_2715                                        // 00000000C144: BF820140

000000000000c148 <label_25D5>:
	v_mul_f32_e64 v4, -v64, s6                                 // 00000000C148: D1050004 20000D40
	v_mul_f32_e64 v5, -v65, s6                                 // 00000000C150: D1050005 20000D41
	v_mul_f32_e64 v6, -v66, s6                                 // 00000000C158: D1050006 20000D42
	v_mul_f32_e64 v7, -v67, s6                                 // 00000000C160: D1050007 20000D43
	v_exp_f32_e32 v4, v4                                       // 00000000C168: 7E084104
	v_exp_f32_e32 v5, v5                                       // 00000000C16C: 7E0A4105
	v_exp_f32_e32 v6, v6                                       // 00000000C170: 7E0C4106
	v_exp_f32_e32 v7, v7                                       // 00000000C174: 7E0E4107
	v_add_f32_e64 v4, v4, 1.0                                  // 00000000C178: D1010004 0001E504
	v_add_f32_e64 v5, v5, 1.0                                  // 00000000C180: D1010005 0001E505
	v_add_f32_e64 v6, v6, 1.0                                  // 00000000C188: D1010006 0001E506
	v_add_f32_e64 v7, v7, 1.0                                  // 00000000C190: D1010007 0001E507
	v_rcp_f32_e32 v4, v4                                       // 00000000C198: 7E084504
	v_rcp_f32_e32 v5, v5                                       // 00000000C19C: 7E0A4505
	v_rcp_f32_e32 v6, v6                                       // 00000000C1A0: 7E0C4506
	v_rcp_f32_e32 v7, v7                                       // 00000000C1A4: 7E0E4507
	v_mul_f32_e32 v64, v64, v4                                 // 00000000C1A8: 0A800940
	v_mul_f32_e32 v65, v65, v5                                 // 00000000C1AC: 0A820B41
	v_mul_f32_e32 v66, v66, v6                                 // 00000000C1B0: 0A840D42
	v_mul_f32_e32 v67, v67, v7                                 // 00000000C1B4: 0A860F43
	v_mul_f32_e32 v64, v64, v104                               // 00000000C1B8: 0A80D140
	v_mul_f32_e32 v65, v65, v105                               // 00000000C1BC: 0A82D341
	v_mul_f32_e32 v66, v66, v106                               // 00000000C1C0: 0A84D542
	v_mul_f32_e32 v67, v67, v107                               // 00000000C1C4: 0A86D743
	v_mul_f32_e64 v4, -v68, s6                                 // 00000000C1C8: D1050004 20000D44
	v_mul_f32_e64 v5, -v69, s6                                 // 00000000C1D0: D1050005 20000D45
	v_mul_f32_e64 v6, -v70, s6                                 // 00000000C1D8: D1050006 20000D46
	v_mul_f32_e64 v7, -v71, s6                                 // 00000000C1E0: D1050007 20000D47
	v_exp_f32_e32 v4, v4                                       // 00000000C1E8: 7E084104
	v_exp_f32_e32 v5, v5                                       // 00000000C1EC: 7E0A4105
	v_exp_f32_e32 v6, v6                                       // 00000000C1F0: 7E0C4106
	v_exp_f32_e32 v7, v7                                       // 00000000C1F4: 7E0E4107
	v_add_f32_e64 v4, v4, 1.0                                  // 00000000C1F8: D1010004 0001E504
	v_add_f32_e64 v5, v5, 1.0                                  // 00000000C200: D1010005 0001E505
	v_add_f32_e64 v6, v6, 1.0                                  // 00000000C208: D1010006 0001E506
	v_add_f32_e64 v7, v7, 1.0                                  // 00000000C210: D1010007 0001E507
	v_rcp_f32_e32 v4, v4                                       // 00000000C218: 7E084504
	v_rcp_f32_e32 v5, v5                                       // 00000000C21C: 7E0A4505
	v_rcp_f32_e32 v6, v6                                       // 00000000C220: 7E0C4506
	v_rcp_f32_e32 v7, v7                                       // 00000000C224: 7E0E4507
	v_mul_f32_e32 v68, v68, v4                                 // 00000000C228: 0A880944
	v_mul_f32_e32 v69, v69, v5                                 // 00000000C22C: 0A8A0B45
	v_mul_f32_e32 v70, v70, v6                                 // 00000000C230: 0A8C0D46
	v_mul_f32_e32 v71, v71, v7                                 // 00000000C234: 0A8E0F47
	v_mul_f32_e32 v68, v68, v108                               // 00000000C238: 0A88D944
	v_mul_f32_e32 v69, v69, v109                               // 00000000C23C: 0A8ADB45
	v_mul_f32_e32 v70, v70, v110                               // 00000000C240: 0A8CDD46
	v_mul_f32_e32 v71, v71, v111                               // 00000000C244: 0A8EDF47
	v_mul_f32_e64 v4, -v72, s6                                 // 00000000C248: D1050004 20000D48
	v_mul_f32_e64 v5, -v73, s6                                 // 00000000C250: D1050005 20000D49
	v_mul_f32_e64 v6, -v74, s6                                 // 00000000C258: D1050006 20000D4A
	v_mul_f32_e64 v7, -v75, s6                                 // 00000000C260: D1050007 20000D4B
	v_exp_f32_e32 v4, v4                                       // 00000000C268: 7E084104
	v_exp_f32_e32 v5, v5                                       // 00000000C26C: 7E0A4105
	v_exp_f32_e32 v6, v6                                       // 00000000C270: 7E0C4106
	v_exp_f32_e32 v7, v7                                       // 00000000C274: 7E0E4107
	v_add_f32_e64 v4, v4, 1.0                                  // 00000000C278: D1010004 0001E504
	v_add_f32_e64 v5, v5, 1.0                                  // 00000000C280: D1010005 0001E505
	v_add_f32_e64 v6, v6, 1.0                                  // 00000000C288: D1010006 0001E506
	v_add_f32_e64 v7, v7, 1.0                                  // 00000000C290: D1010007 0001E507
	v_rcp_f32_e32 v4, v4                                       // 00000000C298: 7E084504
	v_rcp_f32_e32 v5, v5                                       // 00000000C29C: 7E0A4505
	v_rcp_f32_e32 v6, v6                                       // 00000000C2A0: 7E0C4506
	v_rcp_f32_e32 v7, v7                                       // 00000000C2A4: 7E0E4507
	v_mul_f32_e32 v72, v72, v4                                 // 00000000C2A8: 0A900948
	v_mul_f32_e32 v73, v73, v5                                 // 00000000C2AC: 0A920B49
	v_mul_f32_e32 v74, v74, v6                                 // 00000000C2B0: 0A940D4A
	v_mul_f32_e32 v75, v75, v7                                 // 00000000C2B4: 0A960F4B
	v_mul_f32_e32 v72, v72, v112                               // 00000000C2B8: 0A90E148
	v_mul_f32_e32 v73, v73, v113                               // 00000000C2BC: 0A92E349
	v_mul_f32_e32 v74, v74, v114                               // 00000000C2C0: 0A94E54A
	v_mul_f32_e32 v75, v75, v115                               // 00000000C2C4: 0A96E74B
	v_mul_f32_e64 v4, -v76, s6                                 // 00000000C2C8: D1050004 20000D4C
	v_mul_f32_e64 v5, -v77, s6                                 // 00000000C2D0: D1050005 20000D4D
	v_mul_f32_e64 v6, -v78, s6                                 // 00000000C2D8: D1050006 20000D4E
	v_mul_f32_e64 v7, -v79, s6                                 // 00000000C2E0: D1050007 20000D4F
	v_exp_f32_e32 v4, v4                                       // 00000000C2E8: 7E084104
	v_exp_f32_e32 v5, v5                                       // 00000000C2EC: 7E0A4105
	v_exp_f32_e32 v6, v6                                       // 00000000C2F0: 7E0C4106
	v_exp_f32_e32 v7, v7                                       // 00000000C2F4: 7E0E4107
	v_add_f32_e64 v4, v4, 1.0                                  // 00000000C2F8: D1010004 0001E504
	v_add_f32_e64 v5, v5, 1.0                                  // 00000000C300: D1010005 0001E505
	v_add_f32_e64 v6, v6, 1.0                                  // 00000000C308: D1010006 0001E506
	v_add_f32_e64 v7, v7, 1.0                                  // 00000000C310: D1010007 0001E507
	v_rcp_f32_e32 v4, v4                                       // 00000000C318: 7E084504
	v_rcp_f32_e32 v5, v5                                       // 00000000C31C: 7E0A4505
	v_rcp_f32_e32 v6, v6                                       // 00000000C320: 7E0C4506
	v_rcp_f32_e32 v7, v7                                       // 00000000C324: 7E0E4507
	v_mul_f32_e32 v76, v76, v4                                 // 00000000C328: 0A98094C
	v_mul_f32_e32 v77, v77, v5                                 // 00000000C32C: 0A9A0B4D
	v_mul_f32_e32 v78, v78, v6                                 // 00000000C330: 0A9C0D4E
	v_mul_f32_e32 v79, v79, v7                                 // 00000000C334: 0A9E0F4F
	v_mul_f32_e32 v76, v76, v116                               // 00000000C338: 0A98E94C
	v_mul_f32_e32 v77, v77, v117                               // 00000000C33C: 0A9AEB4D
	v_mul_f32_e32 v78, v78, v118                               // 00000000C340: 0A9CED4E
	v_mul_f32_e32 v79, v79, v119                               // 00000000C344: 0A9EEF4F
	v_mul_f32_e64 v4, -v80, s6                                 // 00000000C348: D1050004 20000D50
	v_mul_f32_e64 v5, -v81, s6                                 // 00000000C350: D1050005 20000D51
	v_mul_f32_e64 v6, -v82, s6                                 // 00000000C358: D1050006 20000D52
	v_mul_f32_e64 v7, -v83, s6                                 // 00000000C360: D1050007 20000D53
	v_exp_f32_e32 v4, v4                                       // 00000000C368: 7E084104
	v_exp_f32_e32 v5, v5                                       // 00000000C36C: 7E0A4105
	v_exp_f32_e32 v6, v6                                       // 00000000C370: 7E0C4106
	v_exp_f32_e32 v7, v7                                       // 00000000C374: 7E0E4107
	v_add_f32_e64 v4, v4, 1.0                                  // 00000000C378: D1010004 0001E504
	v_add_f32_e64 v5, v5, 1.0                                  // 00000000C380: D1010005 0001E505
	v_add_f32_e64 v6, v6, 1.0                                  // 00000000C388: D1010006 0001E506
	v_add_f32_e64 v7, v7, 1.0                                  // 00000000C390: D1010007 0001E507
	v_rcp_f32_e32 v4, v4                                       // 00000000C398: 7E084504
	v_rcp_f32_e32 v5, v5                                       // 00000000C39C: 7E0A4505
	v_rcp_f32_e32 v6, v6                                       // 00000000C3A0: 7E0C4506
	v_rcp_f32_e32 v7, v7                                       // 00000000C3A4: 7E0E4507
	v_mul_f32_e32 v80, v80, v4                                 // 00000000C3A8: 0AA00950
	v_mul_f32_e32 v81, v81, v5                                 // 00000000C3AC: 0AA20B51
	v_mul_f32_e32 v82, v82, v6                                 // 00000000C3B0: 0AA40D52
	v_mul_f32_e32 v83, v83, v7                                 // 00000000C3B4: 0AA60F53
	v_mul_f32_e32 v80, v80, v120                               // 00000000C3B8: 0AA0F150
	v_mul_f32_e32 v81, v81, v121                               // 00000000C3BC: 0AA2F351
	v_mul_f32_e32 v82, v82, v122                               // 00000000C3C0: 0AA4F552
	v_mul_f32_e32 v83, v83, v123                               // 00000000C3C4: 0AA6F753
	v_mul_f32_e64 v4, -v84, s6                                 // 00000000C3C8: D1050004 20000D54
	v_mul_f32_e64 v5, -v85, s6                                 // 00000000C3D0: D1050005 20000D55
	v_mul_f32_e64 v6, -v86, s6                                 // 00000000C3D8: D1050006 20000D56
	v_mul_f32_e64 v7, -v87, s6                                 // 00000000C3E0: D1050007 20000D57
	v_exp_f32_e32 v4, v4                                       // 00000000C3E8: 7E084104
	v_exp_f32_e32 v5, v5                                       // 00000000C3EC: 7E0A4105
	v_exp_f32_e32 v6, v6                                       // 00000000C3F0: 7E0C4106
	v_exp_f32_e32 v7, v7                                       // 00000000C3F4: 7E0E4107
	v_add_f32_e64 v4, v4, 1.0                                  // 00000000C3F8: D1010004 0001E504
	v_add_f32_e64 v5, v5, 1.0                                  // 00000000C400: D1010005 0001E505
	v_add_f32_e64 v6, v6, 1.0                                  // 00000000C408: D1010006 0001E506
	v_add_f32_e64 v7, v7, 1.0                                  // 00000000C410: D1010007 0001E507
	v_rcp_f32_e32 v4, v4                                       // 00000000C418: 7E084504
	v_rcp_f32_e32 v5, v5                                       // 00000000C41C: 7E0A4505
	v_rcp_f32_e32 v6, v6                                       // 00000000C420: 7E0C4506
	v_rcp_f32_e32 v7, v7                                       // 00000000C424: 7E0E4507
	v_mul_f32_e32 v84, v84, v4                                 // 00000000C428: 0AA80954
	v_mul_f32_e32 v85, v85, v5                                 // 00000000C42C: 0AAA0B55
	v_mul_f32_e32 v86, v86, v6                                 // 00000000C430: 0AAC0D56
	v_mul_f32_e32 v87, v87, v7                                 // 00000000C434: 0AAE0F57
	v_mul_f32_e32 v84, v84, v124                               // 00000000C438: 0AA8F954
	v_mul_f32_e32 v85, v85, v125                               // 00000000C43C: 0AAAFB55
	v_mul_f32_e32 v86, v86, v126                               // 00000000C440: 0AACFD56
	v_mul_f32_e32 v87, v87, v127                               // 00000000C444: 0AAEFF57
	v_mul_f32_e64 v4, -v88, s6                                 // 00000000C448: D1050004 20000D58
	v_mul_f32_e64 v5, -v89, s6                                 // 00000000C450: D1050005 20000D59
	v_mul_f32_e64 v6, -v90, s6                                 // 00000000C458: D1050006 20000D5A
	v_mul_f32_e64 v7, -v91, s6                                 // 00000000C460: D1050007 20000D5B
	v_exp_f32_e32 v4, v4                                       // 00000000C468: 7E084104
	v_exp_f32_e32 v5, v5                                       // 00000000C46C: 7E0A4105
	v_exp_f32_e32 v6, v6                                       // 00000000C470: 7E0C4106
	v_exp_f32_e32 v7, v7                                       // 00000000C474: 7E0E4107
	v_add_f32_e64 v4, v4, 1.0                                  // 00000000C478: D1010004 0001E504
	v_add_f32_e64 v5, v5, 1.0                                  // 00000000C480: D1010005 0001E505
	v_add_f32_e64 v6, v6, 1.0                                  // 00000000C488: D1010006 0001E506
	v_add_f32_e64 v7, v7, 1.0                                  // 00000000C490: D1010007 0001E507
	v_rcp_f32_e32 v4, v4                                       // 00000000C498: 7E084504
	v_rcp_f32_e32 v5, v5                                       // 00000000C49C: 7E0A4505
	v_rcp_f32_e32 v6, v6                                       // 00000000C4A0: 7E0C4506
	v_rcp_f32_e32 v7, v7                                       // 00000000C4A4: 7E0E4507
	v_mul_f32_e32 v88, v88, v4                                 // 00000000C4A8: 0AB00958
	v_mul_f32_e32 v89, v89, v5                                 // 00000000C4AC: 0AB20B59
	v_mul_f32_e32 v90, v90, v6                                 // 00000000C4B0: 0AB40D5A
	v_mul_f32_e32 v91, v91, v7                                 // 00000000C4B4: 0AB60F5B
	v_mul_f32_e32 v88, v88, v128                               // 00000000C4B8: 0AB10158
	v_mul_f32_e32 v89, v89, v129                               // 00000000C4BC: 0AB30359
	v_mul_f32_e32 v90, v90, v130                               // 00000000C4C0: 0AB5055A
	v_mul_f32_e32 v91, v91, v131                               // 00000000C4C4: 0AB7075B
	v_mul_f32_e64 v4, -v92, s6                                 // 00000000C4C8: D1050004 20000D5C
	v_mul_f32_e64 v5, -v93, s6                                 // 00000000C4D0: D1050005 20000D5D
	v_mul_f32_e64 v6, -v94, s6                                 // 00000000C4D8: D1050006 20000D5E
	v_mul_f32_e64 v7, -v95, s6                                 // 00000000C4E0: D1050007 20000D5F
	v_exp_f32_e32 v4, v4                                       // 00000000C4E8: 7E084104
	v_exp_f32_e32 v5, v5                                       // 00000000C4EC: 7E0A4105
	v_exp_f32_e32 v6, v6                                       // 00000000C4F0: 7E0C4106
	v_exp_f32_e32 v7, v7                                       // 00000000C4F4: 7E0E4107
	v_add_f32_e64 v4, v4, 1.0                                  // 00000000C4F8: D1010004 0001E504
	v_add_f32_e64 v5, v5, 1.0                                  // 00000000C500: D1010005 0001E505
	v_add_f32_e64 v6, v6, 1.0                                  // 00000000C508: D1010006 0001E506
	v_add_f32_e64 v7, v7, 1.0                                  // 00000000C510: D1010007 0001E507
	v_rcp_f32_e32 v4, v4                                       // 00000000C518: 7E084504
	v_rcp_f32_e32 v5, v5                                       // 00000000C51C: 7E0A4505
	v_rcp_f32_e32 v6, v6                                       // 00000000C520: 7E0C4506
	v_rcp_f32_e32 v7, v7                                       // 00000000C524: 7E0E4507
	v_mul_f32_e32 v92, v92, v4                                 // 00000000C528: 0AB8095C
	v_mul_f32_e32 v93, v93, v5                                 // 00000000C52C: 0ABA0B5D
	v_mul_f32_e32 v94, v94, v6                                 // 00000000C530: 0ABC0D5E
	v_mul_f32_e32 v95, v95, v7                                 // 00000000C534: 0ABE0F5F
	v_mul_f32_e32 v92, v92, v132                               // 00000000C538: 0AB9095C
	v_mul_f32_e32 v93, v93, v133                               // 00000000C53C: 0ABB0B5D
	v_mul_f32_e32 v94, v94, v134                               // 00000000C540: 0ABD0D5E
	v_mul_f32_e32 v95, v95, v135                               // 00000000C544: 0ABF0F5F
	v_mul_f32_e64 v4, -v96, s6                                 // 00000000C548: D1050004 20000D60
	v_mul_f32_e64 v5, -v97, s6                                 // 00000000C550: D1050005 20000D61
	v_mul_f32_e64 v6, -v98, s6                                 // 00000000C558: D1050006 20000D62
	v_mul_f32_e64 v7, -v99, s6                                 // 00000000C560: D1050007 20000D63
	v_exp_f32_e32 v4, v4                                       // 00000000C568: 7E084104
	v_exp_f32_e32 v5, v5                                       // 00000000C56C: 7E0A4105
	v_exp_f32_e32 v6, v6                                       // 00000000C570: 7E0C4106
	v_exp_f32_e32 v7, v7                                       // 00000000C574: 7E0E4107
	v_add_f32_e64 v4, v4, 1.0                                  // 00000000C578: D1010004 0001E504
	v_add_f32_e64 v5, v5, 1.0                                  // 00000000C580: D1010005 0001E505
	v_add_f32_e64 v6, v6, 1.0                                  // 00000000C588: D1010006 0001E506
	v_add_f32_e64 v7, v7, 1.0                                  // 00000000C590: D1010007 0001E507
	v_rcp_f32_e32 v4, v4                                       // 00000000C598: 7E084504
	v_rcp_f32_e32 v5, v5                                       // 00000000C59C: 7E0A4505
	v_rcp_f32_e32 v6, v6                                       // 00000000C5A0: 7E0C4506
	v_rcp_f32_e32 v7, v7                                       // 00000000C5A4: 7E0E4507
	v_mul_f32_e32 v96, v96, v4                                 // 00000000C5A8: 0AC00960
	v_mul_f32_e32 v97, v97, v5                                 // 00000000C5AC: 0AC20B61
	v_mul_f32_e32 v98, v98, v6                                 // 00000000C5B0: 0AC40D62
	v_mul_f32_e32 v99, v99, v7                                 // 00000000C5B4: 0AC60F63
	v_mul_f32_e32 v96, v96, v136                               // 00000000C5B8: 0AC11160
	v_mul_f32_e32 v97, v97, v137                               // 00000000C5BC: 0AC31361
	v_mul_f32_e32 v98, v98, v138                               // 00000000C5C0: 0AC51562
	v_mul_f32_e32 v99, v99, v139                               // 00000000C5C4: 0AC71763
	v_mul_f32_e64 v4, -v100, s6                                // 00000000C5C8: D1050004 20000D64
	v_mul_f32_e64 v5, -v101, s6                                // 00000000C5D0: D1050005 20000D65
	v_mul_f32_e64 v6, -v102, s6                                // 00000000C5D8: D1050006 20000D66
	v_mul_f32_e64 v7, -v103, s6                                // 00000000C5E0: D1050007 20000D67
	v_exp_f32_e32 v4, v4                                       // 00000000C5E8: 7E084104
	v_exp_f32_e32 v5, v5                                       // 00000000C5EC: 7E0A4105
	v_exp_f32_e32 v6, v6                                       // 00000000C5F0: 7E0C4106
	v_exp_f32_e32 v7, v7                                       // 00000000C5F4: 7E0E4107
	v_add_f32_e64 v4, v4, 1.0                                  // 00000000C5F8: D1010004 0001E504
	v_add_f32_e64 v5, v5, 1.0                                  // 00000000C600: D1010005 0001E505
	v_add_f32_e64 v6, v6, 1.0                                  // 00000000C608: D1010006 0001E506
	v_add_f32_e64 v7, v7, 1.0                                  // 00000000C610: D1010007 0001E507
	v_rcp_f32_e32 v4, v4                                       // 00000000C618: 7E084504
	v_rcp_f32_e32 v5, v5                                       // 00000000C61C: 7E0A4505
	v_rcp_f32_e32 v6, v6                                       // 00000000C620: 7E0C4506
	v_rcp_f32_e32 v7, v7                                       // 00000000C624: 7E0E4507
	v_mul_f32_e32 v100, v100, v4                               // 00000000C628: 0AC80964
	v_mul_f32_e32 v101, v101, v5                               // 00000000C62C: 0ACA0B65
	v_mul_f32_e32 v102, v102, v6                               // 00000000C630: 0ACC0D66
	v_mul_f32_e32 v103, v103, v7                               // 00000000C634: 0ACE0F67
	v_mul_f32_e32 v100, v100, v140                             // 00000000C638: 0AC91964
	v_mul_f32_e32 v101, v101, v141                             // 00000000C63C: 0ACB1B65
	v_mul_f32_e32 v102, v102, v142                             // 00000000C640: 0ACD1D66
	v_mul_f32_e32 v103, v103, v143                             // 00000000C644: 0ACF1F67

000000000000c648 <label_2715>:
	s_cmp_eq_u32 s7, 0                                         // 00000000C648: BF068007
	s_cbranch_scc0 label_2728                                  // 00000000C64C: BF840011
	v_and_b32_e32 v4, 15, v0                                   // 00000000C650: 2608008F
	v_lshlrev_b32_e32 v4, 2, v4                                // 00000000C654: 24080882
	buffer_load_dword v30, v4, s[12:15], 0 offen               // 00000000C658: E0501000 80031E04
	v_add_u32_e32 v4, 64, v4                                   // 00000000C660: 680808C0
	buffer_load_dword v31, v4, s[12:15], 0 offen               // 00000000C664: E0501000 80031F04
	v_add_u32_e32 v4, 64, v4                                   // 00000000C66C: 680808C0
	buffer_load_dword v32, v4, s[12:15], 0 offen               // 00000000C670: E0501000 80032004
	v_add_u32_e32 v4, 64, v4                                   // 00000000C678: 680808C0
	buffer_load_dword v33, v4, s[12:15], 0 offen               // 00000000C67C: E0501000 80032104
	v_add_u32_e32 v4, 64, v4                                   // 00000000C684: 680808C0
	buffer_load_dword v34, v4, s[12:15], 0 offen               // 00000000C688: E0501000 80032204
	v_add_u32_e32 v4, 64, v4                                   // 00000000C690: 680808C0

000000000000c694 <label_2728>:
	v_lshlrev_b32_e32 v4, 2, v0                                // 00000000C694: 24080082
	s_mul_i32 s60, 0x100, s7                                   // 00000000C698: 923C07FF 00000100
	v_add_u32_e32 v109, s60, v4                                // 00000000C6A0: 68DA083C
	v_and_b32_e32 v4, 15, v0                                   // 00000000C6A4: 2608008F
	v_lshlrev_b32_e32 v110, 2, v4                              // 00000000C6A8: 24DC0882
	s_waitcnt lgkmcnt(0)                                       // 00000000C6AC: BF8CC07F
	s_barrier                                                  // 00000000C6B0: BF8A0000
	v_mov_b32_e32 v104, 0x358637bd                             // 00000000C6B4: 7ED002FF 358637BD
	v_max3_f32 v104, |v64|, |v65|, v104                        // 00000000C6BC: D1D30368 05A28340
	v_max3_f32 v104, |v66|, |v67|, v104                        // 00000000C6C4: D1D30368 05A28742
	v_max3_f32 v104, |v84|, |v85|, v104                        // 00000000C6CC: D1D30368 05A2AB54
	v_max3_f32 v104, |v86|, |v87|, v104                        // 00000000C6D4: D1D30368 05A2AF56
	ds_write_b32 v109, v104                                    // 00000000C6DC: D81A0000 0000686D
	s_waitcnt lgkmcnt(0)                                       // 00000000C6E4: BF8CC07F
	s_barrier                                                  // 00000000C6E8: BF8A0000
	ds_read_b32 v4, v110                                       // 00000000C6EC: D86C0000 0400006E
	ds_read_b32 v5, v110 offset:64                             // 00000000C6F4: D86C0040 0500006E
	ds_read_b32 v6, v110 offset:128                            // 00000000C6FC: D86C0080 0600006E
	ds_read_b32 v7, v110 offset:192                            // 00000000C704: D86C00C0 0700006E
	ds_read_b32 v8, v110 offset:256                            // 00000000C70C: D86C0100 0800006E
	ds_read_b32 v9, v110 offset:320                            // 00000000C714: D86C0140 0900006E
	ds_read_b32 v10, v110 offset:384                           // 00000000C71C: D86C0180 0A00006E
	ds_read_b32 v11, v110 offset:448                           // 00000000C724: D86C01C0 0B00006E
	ds_read_b32 v12, v110 offset:512                           // 00000000C72C: D86C0200 0C00006E
	ds_read_b32 v13, v110 offset:576                           // 00000000C734: D86C0240 0D00006E
	ds_read_b32 v14, v110 offset:640                           // 00000000C73C: D86C0280 0E00006E
	ds_read_b32 v15, v110 offset:704                           // 00000000C744: D86C02C0 0F00006E
	ds_read_b32 v16, v110 offset:768                           // 00000000C74C: D86C0300 1000006E
	ds_read_b32 v17, v110 offset:832                           // 00000000C754: D86C0340 1100006E
	ds_read_b32 v18, v110 offset:896                           // 00000000C75C: D86C0380 1200006E
	ds_read_b32 v19, v110 offset:960                           // 00000000C764: D86C03C0 1300006E
	s_waitcnt lgkmcnt(0)                                       // 00000000C76C: BF8CC07F
	s_barrier                                                  // 00000000C770: BF8A0000
	v_max3_f32 v104, |v4|, |v5|, v104                          // 00000000C774: D1D30368 05A20B04
	v_max3_f32 v104, |v6|, |v7|, v104                          // 00000000C77C: D1D30368 05A20F06
	v_max3_f32 v104, |v8|, |v9|, v104                          // 00000000C784: D1D30368 05A21308
	v_max3_f32 v104, |v10|, |v11|, v104                        // 00000000C78C: D1D30368 05A2170A
	v_max3_f32 v104, |v12|, |v13|, v104                        // 00000000C794: D1D30368 05A21B0C
	v_max3_f32 v104, |v14|, |v15|, v104                        // 00000000C79C: D1D30368 05A21F0E
	v_max3_f32 v104, |v16|, |v17|, v104                        // 00000000C7A4: D1D30368 05A22310
	v_max3_f32 v104, |v18|, |v19|, v104                        // 00000000C7AC: D1D30368 05A22712
	v_rcp_f32_e32 v104, v104                                   // 00000000C7B4: 7ED04568
	v_mov_b32_e32 v4, 0x43700000                               // 00000000C7B8: 7E0802FF 43700000
	v_mul_f32_e32 v104, v4, v104                               // 00000000C7C0: 0AD0D104
	v_mov_b32_e32 v4, v104                                     // 00000000C7C4: 7E080368
	v_mov_b32_e32 v5, v4                                       // 00000000C7C8: 7E0A0304
	v_pk_mul_f32 v[64:65], v[4:5], v[64:65]                    // 00000000C7CC: D3B14040 18028104
	v_pk_mul_f32 v[66:67], v[4:5], v[66:67]                    // 00000000C7D4: D3B14042 18028504
	v_cvt_pk_fp8_f32 v64, v64, v65                             // 00000000C7DC: D2A20040 00028340
	v_cvt_pk_fp8_f32 v64, v66, v67 op_sel:[0,0,1]              // 00000000C7E4: D2A24040 00028742
	v_pk_mul_f32 v[84:85], v[4:5], v[84:85]                    // 00000000C7EC: D3B14054 1802A904
	v_pk_mul_f32 v[86:87], v[4:5], v[86:87]                    // 00000000C7F4: D3B14056 1802AD04
	v_cvt_pk_fp8_f32 v84, v84, v85                             // 00000000C7FC: D2A20054 0002AB54
	v_cvt_pk_fp8_f32 v84, v86, v87 op_sel:[0,0,1]              // 00000000C804: D2A24054 0002AF56
	v_rcp_f32_e32 v104, v104                                   // 00000000C80C: 7ED04568
	v_mov_b32_e32 v105, 0x358637bd                             // 00000000C810: 7ED202FF 358637BD
	v_max3_f32 v105, |v68|, |v69|, v105                        // 00000000C818: D1D30369 05A68B44
	v_max3_f32 v105, |v70|, |v71|, v105                        // 00000000C820: D1D30369 05A68F46
	v_max3_f32 v105, |v88|, |v89|, v105                        // 00000000C828: D1D30369 05A6B358
	v_max3_f32 v105, |v90|, |v91|, v105                        // 00000000C830: D1D30369 05A6B75A
	ds_write_b32 v109, v105                                    // 00000000C838: D81A0000 0000696D
	s_waitcnt lgkmcnt(0)                                       // 00000000C840: BF8CC07F
	s_barrier                                                  // 00000000C844: BF8A0000
	ds_read_b32 v4, v110                                       // 00000000C848: D86C0000 0400006E
	ds_read_b32 v5, v110 offset:64                             // 00000000C850: D86C0040 0500006E
	ds_read_b32 v6, v110 offset:128                            // 00000000C858: D86C0080 0600006E
	ds_read_b32 v7, v110 offset:192                            // 00000000C860: D86C00C0 0700006E
	ds_read_b32 v8, v110 offset:256                            // 00000000C868: D86C0100 0800006E
	ds_read_b32 v9, v110 offset:320                            // 00000000C870: D86C0140 0900006E
	ds_read_b32 v10, v110 offset:384                           // 00000000C878: D86C0180 0A00006E
	ds_read_b32 v11, v110 offset:448                           // 00000000C880: D86C01C0 0B00006E
	ds_read_b32 v12, v110 offset:512                           // 00000000C888: D86C0200 0C00006E
	ds_read_b32 v13, v110 offset:576                           // 00000000C890: D86C0240 0D00006E
	ds_read_b32 v14, v110 offset:640                           // 00000000C898: D86C0280 0E00006E
	ds_read_b32 v15, v110 offset:704                           // 00000000C8A0: D86C02C0 0F00006E
	ds_read_b32 v16, v110 offset:768                           // 00000000C8A8: D86C0300 1000006E
	ds_read_b32 v17, v110 offset:832                           // 00000000C8B0: D86C0340 1100006E
	ds_read_b32 v18, v110 offset:896                           // 00000000C8B8: D86C0380 1200006E
	ds_read_b32 v19, v110 offset:960                           // 00000000C8C0: D86C03C0 1300006E
	s_waitcnt lgkmcnt(0)                                       // 00000000C8C8: BF8CC07F
	s_barrier                                                  // 00000000C8CC: BF8A0000
	v_max3_f32 v105, |v4|, |v5|, v105                          // 00000000C8D0: D1D30369 05A60B04
	v_max3_f32 v105, |v6|, |v7|, v105                          // 00000000C8D8: D1D30369 05A60F06
	v_max3_f32 v105, |v8|, |v9|, v105                          // 00000000C8E0: D1D30369 05A61308
	v_max3_f32 v105, |v10|, |v11|, v105                        // 00000000C8E8: D1D30369 05A6170A
	v_max3_f32 v105, |v12|, |v13|, v105                        // 00000000C8F0: D1D30369 05A61B0C
	v_max3_f32 v105, |v14|, |v15|, v105                        // 00000000C8F8: D1D30369 05A61F0E
	v_max3_f32 v105, |v16|, |v17|, v105                        // 00000000C900: D1D30369 05A62310
	v_max3_f32 v105, |v18|, |v19|, v105                        // 00000000C908: D1D30369 05A62712
	v_rcp_f32_e32 v105, v105                                   // 00000000C910: 7ED24569
	v_mov_b32_e32 v4, 0x43700000                               // 00000000C914: 7E0802FF 43700000
	v_mul_f32_e32 v105, v4, v105                               // 00000000C91C: 0AD2D304
	v_mov_b32_e32 v4, v105                                     // 00000000C920: 7E080369
	v_mov_b32_e32 v5, v4                                       // 00000000C924: 7E0A0304
	v_pk_mul_f32 v[68:69], v[4:5], v[68:69]                    // 00000000C928: D3B14044 18028904
	v_pk_mul_f32 v[70:71], v[4:5], v[70:71]                    // 00000000C930: D3B14046 18028D04
	v_cvt_pk_fp8_f32 v68, v68, v69                             // 00000000C938: D2A20044 00028B44
	v_cvt_pk_fp8_f32 v68, v70, v71 op_sel:[0,0,1]              // 00000000C940: D2A24044 00028F46
	v_pk_mul_f32 v[88:89], v[4:5], v[88:89]                    // 00000000C948: D3B14058 1802B104
	v_pk_mul_f32 v[90:91], v[4:5], v[90:91]                    // 00000000C950: D3B1405A 1802B504
	v_cvt_pk_fp8_f32 v88, v88, v89                             // 00000000C958: D2A20058 0002B358
	v_cvt_pk_fp8_f32 v88, v90, v91 op_sel:[0,0,1]              // 00000000C960: D2A24058 0002B75A
	v_rcp_f32_e32 v105, v105                                   // 00000000C968: 7ED24569
	v_mov_b32_e32 v106, 0x358637bd                             // 00000000C96C: 7ED402FF 358637BD
	v_max3_f32 v106, |v72|, |v73|, v106                        // 00000000C974: D1D3036A 05AA9348
	v_max3_f32 v106, |v74|, |v75|, v106                        // 00000000C97C: D1D3036A 05AA974A
	v_max3_f32 v106, |v92|, |v93|, v106                        // 00000000C984: D1D3036A 05AABB5C
	v_max3_f32 v106, |v94|, |v95|, v106                        // 00000000C98C: D1D3036A 05AABF5E
	ds_write_b32 v109, v106                                    // 00000000C994: D81A0000 00006A6D
	s_waitcnt lgkmcnt(0)                                       // 00000000C99C: BF8CC07F
	s_barrier                                                  // 00000000C9A0: BF8A0000
	ds_read_b32 v4, v110                                       // 00000000C9A4: D86C0000 0400006E
	ds_read_b32 v5, v110 offset:64                             // 00000000C9AC: D86C0040 0500006E
	ds_read_b32 v6, v110 offset:128                            // 00000000C9B4: D86C0080 0600006E
	ds_read_b32 v7, v110 offset:192                            // 00000000C9BC: D86C00C0 0700006E
	ds_read_b32 v8, v110 offset:256                            // 00000000C9C4: D86C0100 0800006E
	ds_read_b32 v9, v110 offset:320                            // 00000000C9CC: D86C0140 0900006E
	ds_read_b32 v10, v110 offset:384                           // 00000000C9D4: D86C0180 0A00006E
	ds_read_b32 v11, v110 offset:448                           // 00000000C9DC: D86C01C0 0B00006E
	ds_read_b32 v12, v110 offset:512                           // 00000000C9E4: D86C0200 0C00006E
	ds_read_b32 v13, v110 offset:576                           // 00000000C9EC: D86C0240 0D00006E
	ds_read_b32 v14, v110 offset:640                           // 00000000C9F4: D86C0280 0E00006E
	ds_read_b32 v15, v110 offset:704                           // 00000000C9FC: D86C02C0 0F00006E
	ds_read_b32 v16, v110 offset:768                           // 00000000CA04: D86C0300 1000006E
	ds_read_b32 v17, v110 offset:832                           // 00000000CA0C: D86C0340 1100006E
	ds_read_b32 v18, v110 offset:896                           // 00000000CA14: D86C0380 1200006E
	ds_read_b32 v19, v110 offset:960                           // 00000000CA1C: D86C03C0 1300006E
	s_waitcnt lgkmcnt(0)                                       // 00000000CA24: BF8CC07F
	s_barrier                                                  // 00000000CA28: BF8A0000
	v_max3_f32 v106, |v4|, |v5|, v106                          // 00000000CA2C: D1D3036A 05AA0B04
	v_max3_f32 v106, |v6|, |v7|, v106                          // 00000000CA34: D1D3036A 05AA0F06
	v_max3_f32 v106, |v8|, |v9|, v106                          // 00000000CA3C: D1D3036A 05AA1308
	v_max3_f32 v106, |v10|, |v11|, v106                        // 00000000CA44: D1D3036A 05AA170A
	v_max3_f32 v106, |v12|, |v13|, v106                        // 00000000CA4C: D1D3036A 05AA1B0C
	v_max3_f32 v106, |v14|, |v15|, v106                        // 00000000CA54: D1D3036A 05AA1F0E
	v_max3_f32 v106, |v16|, |v17|, v106                        // 00000000CA5C: D1D3036A 05AA2310
	v_max3_f32 v106, |v18|, |v19|, v106                        // 00000000CA64: D1D3036A 05AA2712
	v_rcp_f32_e32 v106, v106                                   // 00000000CA6C: 7ED4456A
	v_mov_b32_e32 v4, 0x43700000                               // 00000000CA70: 7E0802FF 43700000
	v_mul_f32_e32 v106, v4, v106                               // 00000000CA78: 0AD4D504
	v_mov_b32_e32 v4, v106                                     // 00000000CA7C: 7E08036A
	v_mov_b32_e32 v5, v4                                       // 00000000CA80: 7E0A0304
	v_pk_mul_f32 v[72:73], v[4:5], v[72:73]                    // 00000000CA84: D3B14048 18029104
	v_pk_mul_f32 v[74:75], v[4:5], v[74:75]                    // 00000000CA8C: D3B1404A 18029504
	v_cvt_pk_fp8_f32 v72, v72, v73                             // 00000000CA94: D2A20048 00029348
	v_cvt_pk_fp8_f32 v72, v74, v75 op_sel:[0,0,1]              // 00000000CA9C: D2A24048 0002974A
	v_pk_mul_f32 v[92:93], v[4:5], v[92:93]                    // 00000000CAA4: D3B1405C 1802B904
	v_pk_mul_f32 v[94:95], v[4:5], v[94:95]                    // 00000000CAAC: D3B1405E 1802BD04
	v_cvt_pk_fp8_f32 v92, v92, v93                             // 00000000CAB4: D2A2005C 0002BB5C
	v_cvt_pk_fp8_f32 v92, v94, v95 op_sel:[0,0,1]              // 00000000CABC: D2A2405C 0002BF5E
	v_rcp_f32_e32 v106, v106                                   // 00000000CAC4: 7ED4456A
	v_mov_b32_e32 v107, 0x358637bd                             // 00000000CAC8: 7ED602FF 358637BD
	v_max3_f32 v107, |v76|, |v77|, v107                        // 00000000CAD0: D1D3036B 05AE9B4C
	v_max3_f32 v107, |v78|, |v79|, v107                        // 00000000CAD8: D1D3036B 05AE9F4E
	v_max3_f32 v107, |v96|, |v97|, v107                        // 00000000CAE0: D1D3036B 05AEC360
	v_max3_f32 v107, |v98|, |v99|, v107                        // 00000000CAE8: D1D3036B 05AEC762
	ds_write_b32 v109, v107                                    // 00000000CAF0: D81A0000 00006B6D
	s_waitcnt lgkmcnt(0)                                       // 00000000CAF8: BF8CC07F
	s_barrier                                                  // 00000000CAFC: BF8A0000
	ds_read_b32 v4, v110                                       // 00000000CB00: D86C0000 0400006E
	ds_read_b32 v5, v110 offset:64                             // 00000000CB08: D86C0040 0500006E
	ds_read_b32 v6, v110 offset:128                            // 00000000CB10: D86C0080 0600006E
	ds_read_b32 v7, v110 offset:192                            // 00000000CB18: D86C00C0 0700006E
	ds_read_b32 v8, v110 offset:256                            // 00000000CB20: D86C0100 0800006E
	ds_read_b32 v9, v110 offset:320                            // 00000000CB28: D86C0140 0900006E
	ds_read_b32 v10, v110 offset:384                           // 00000000CB30: D86C0180 0A00006E
	ds_read_b32 v11, v110 offset:448                           // 00000000CB38: D86C01C0 0B00006E
	ds_read_b32 v12, v110 offset:512                           // 00000000CB40: D86C0200 0C00006E
	ds_read_b32 v13, v110 offset:576                           // 00000000CB48: D86C0240 0D00006E
	ds_read_b32 v14, v110 offset:640                           // 00000000CB50: D86C0280 0E00006E
	ds_read_b32 v15, v110 offset:704                           // 00000000CB58: D86C02C0 0F00006E
	ds_read_b32 v16, v110 offset:768                           // 00000000CB60: D86C0300 1000006E
	ds_read_b32 v17, v110 offset:832                           // 00000000CB68: D86C0340 1100006E
	ds_read_b32 v18, v110 offset:896                           // 00000000CB70: D86C0380 1200006E
	ds_read_b32 v19, v110 offset:960                           // 00000000CB78: D86C03C0 1300006E
	s_waitcnt lgkmcnt(0)                                       // 00000000CB80: BF8CC07F
	s_barrier                                                  // 00000000CB84: BF8A0000
	v_max3_f32 v107, |v4|, |v5|, v107                          // 00000000CB88: D1D3036B 05AE0B04
	v_max3_f32 v107, |v6|, |v7|, v107                          // 00000000CB90: D1D3036B 05AE0F06
	v_max3_f32 v107, |v8|, |v9|, v107                          // 00000000CB98: D1D3036B 05AE1308
	v_max3_f32 v107, |v10|, |v11|, v107                        // 00000000CBA0: D1D3036B 05AE170A
	v_max3_f32 v107, |v12|, |v13|, v107                        // 00000000CBA8: D1D3036B 05AE1B0C
	v_max3_f32 v107, |v14|, |v15|, v107                        // 00000000CBB0: D1D3036B 05AE1F0E
	v_max3_f32 v107, |v16|, |v17|, v107                        // 00000000CBB8: D1D3036B 05AE2310
	v_max3_f32 v107, |v18|, |v19|, v107                        // 00000000CBC0: D1D3036B 05AE2712
	v_rcp_f32_e32 v107, v107                                   // 00000000CBC8: 7ED6456B
	v_mov_b32_e32 v4, 0x43700000                               // 00000000CBCC: 7E0802FF 43700000
	v_mul_f32_e32 v107, v4, v107                               // 00000000CBD4: 0AD6D704
	v_mov_b32_e32 v4, v107                                     // 00000000CBD8: 7E08036B
	v_mov_b32_e32 v5, v4                                       // 00000000CBDC: 7E0A0304
	v_pk_mul_f32 v[76:77], v[4:5], v[76:77]                    // 00000000CBE0: D3B1404C 18029904
	v_pk_mul_f32 v[78:79], v[4:5], v[78:79]                    // 00000000CBE8: D3B1404E 18029D04
	v_cvt_pk_fp8_f32 v76, v76, v77                             // 00000000CBF0: D2A2004C 00029B4C
	v_cvt_pk_fp8_f32 v76, v78, v79 op_sel:[0,0,1]              // 00000000CBF8: D2A2404C 00029F4E
	v_pk_mul_f32 v[96:97], v[4:5], v[96:97]                    // 00000000CC00: D3B14060 1802C104
	v_pk_mul_f32 v[98:99], v[4:5], v[98:99]                    // 00000000CC08: D3B14062 1802C504
	v_cvt_pk_fp8_f32 v96, v96, v97                             // 00000000CC10: D2A20060 0002C360
	v_cvt_pk_fp8_f32 v96, v98, v99 op_sel:[0,0,1]              // 00000000CC18: D2A24060 0002C762
	v_rcp_f32_e32 v107, v107                                   // 00000000CC20: 7ED6456B
	v_mov_b32_e32 v108, 0x358637bd                             // 00000000CC24: 7ED802FF 358637BD
	v_max3_f32 v108, |v80|, |v81|, v108                        // 00000000CC2C: D1D3036C 05B2A350
	v_max3_f32 v108, |v82|, |v83|, v108                        // 00000000CC34: D1D3036C 05B2A752
	v_max3_f32 v108, |v100|, |v101|, v108                      // 00000000CC3C: D1D3036C 05B2CB64
	v_max3_f32 v108, |v102|, |v103|, v108                      // 00000000CC44: D1D3036C 05B2CF66
	ds_write_b32 v109, v108                                    // 00000000CC4C: D81A0000 00006C6D
	s_waitcnt lgkmcnt(0)                                       // 00000000CC54: BF8CC07F
	s_barrier                                                  // 00000000CC58: BF8A0000
	ds_read_b32 v4, v110                                       // 00000000CC5C: D86C0000 0400006E
	ds_read_b32 v5, v110 offset:64                             // 00000000CC64: D86C0040 0500006E
	ds_read_b32 v6, v110 offset:128                            // 00000000CC6C: D86C0080 0600006E
	ds_read_b32 v7, v110 offset:192                            // 00000000CC74: D86C00C0 0700006E
	ds_read_b32 v8, v110 offset:256                            // 00000000CC7C: D86C0100 0800006E
	ds_read_b32 v9, v110 offset:320                            // 00000000CC84: D86C0140 0900006E
	ds_read_b32 v10, v110 offset:384                           // 00000000CC8C: D86C0180 0A00006E
	ds_read_b32 v11, v110 offset:448                           // 00000000CC94: D86C01C0 0B00006E
	ds_read_b32 v12, v110 offset:512                           // 00000000CC9C: D86C0200 0C00006E
	ds_read_b32 v13, v110 offset:576                           // 00000000CCA4: D86C0240 0D00006E
	ds_read_b32 v14, v110 offset:640                           // 00000000CCAC: D86C0280 0E00006E
	ds_read_b32 v15, v110 offset:704                           // 00000000CCB4: D86C02C0 0F00006E
	ds_read_b32 v16, v110 offset:768                           // 00000000CCBC: D86C0300 1000006E
	ds_read_b32 v17, v110 offset:832                           // 00000000CCC4: D86C0340 1100006E
	ds_read_b32 v18, v110 offset:896                           // 00000000CCCC: D86C0380 1200006E
	ds_read_b32 v19, v110 offset:960                           // 00000000CCD4: D86C03C0 1300006E
	s_waitcnt lgkmcnt(0)                                       // 00000000CCDC: BF8CC07F
	s_barrier                                                  // 00000000CCE0: BF8A0000
	v_max3_f32 v108, |v4|, |v5|, v108                          // 00000000CCE4: D1D3036C 05B20B04
	v_max3_f32 v108, |v6|, |v7|, v108                          // 00000000CCEC: D1D3036C 05B20F06
	v_max3_f32 v108, |v8|, |v9|, v108                          // 00000000CCF4: D1D3036C 05B21308
	v_max3_f32 v108, |v10|, |v11|, v108                        // 00000000CCFC: D1D3036C 05B2170A
	v_max3_f32 v108, |v12|, |v13|, v108                        // 00000000CD04: D1D3036C 05B21B0C
	v_max3_f32 v108, |v14|, |v15|, v108                        // 00000000CD0C: D1D3036C 05B21F0E
	v_max3_f32 v108, |v16|, |v17|, v108                        // 00000000CD14: D1D3036C 05B22310
	v_max3_f32 v108, |v18|, |v19|, v108                        // 00000000CD1C: D1D3036C 05B22712
	v_rcp_f32_e32 v108, v108                                   // 00000000CD24: 7ED8456C
	v_mov_b32_e32 v4, 0x43700000                               // 00000000CD28: 7E0802FF 43700000
	v_mul_f32_e32 v108, v4, v108                               // 00000000CD30: 0AD8D904
	v_mov_b32_e32 v4, v108                                     // 00000000CD34: 7E08036C
	v_mov_b32_e32 v5, v4                                       // 00000000CD38: 7E0A0304
	v_pk_mul_f32 v[80:81], v[4:5], v[80:81]                    // 00000000CD3C: D3B14050 1802A104
	v_pk_mul_f32 v[82:83], v[4:5], v[82:83]                    // 00000000CD44: D3B14052 1802A504
	v_cvt_pk_fp8_f32 v80, v80, v81                             // 00000000CD4C: D2A20050 0002A350
	v_cvt_pk_fp8_f32 v80, v82, v83 op_sel:[0,0,1]              // 00000000CD54: D2A24050 0002A752
	v_pk_mul_f32 v[100:101], v[4:5], v[100:101]                // 00000000CD5C: D3B14064 1802C904
	v_pk_mul_f32 v[102:103], v[4:5], v[102:103]                // 00000000CD64: D3B14066 1802CD04
	v_cvt_pk_fp8_f32 v100, v100, v101                          // 00000000CD6C: D2A20064 0002CB64
	v_cvt_pk_fp8_f32 v100, v102, v103 op_sel:[0,0,1]           // 00000000CD74: D2A24064 0002CF66
	v_rcp_f32_e32 v108, v108                                   // 00000000CD7C: 7ED8456C
	v_lshrrev_b32_e32 v4, 5, v0                                // 00000000CD80: 20080085
	v_mul_lo_u32 v20, 34, v4                                   // 00000000CD84: D2850014 000208A2
	v_and_b32_e32 v4, 31, v0                                   // 00000000CD8C: 2608009F
	v_lshrrev_b32_e32 v5, 4, v4                                // 00000000CD90: 200A0884
	v_add_u32_e32 v20, v5, v20                                 // 00000000CD94: 68282905
	v_and_b32_e32 v4, 15, v0                                   // 00000000CD98: 2608008F
	v_mul_lo_u32 v5, 2, v4                                     // 00000000CD9C: D2850005 00020882
	v_add_u32_e32 v20, v5, v20                                 // 00000000CDA4: 68282905
	s_mul_i32 s60, s7, 0x44                                    // 00000000CDA8: 923CFF07 00000044
	v_add_u32_e32 v20, s60, v20                                // 00000000CDB0: 6828283C
	v_lshlrev_b32_e32 v20, 2, v20                              // 00000000CDB4: 24282882
	ds_write_b32 v20, v64                                      // 00000000CDB8: D81A0000 00004014
	ds_write_b32 v20, v68 offset:2176                          // 00000000CDC0: D81A0880 00004414
	ds_write_b32 v20, v72 offset:4352                          // 00000000CDC8: D81A1100 00004814
	ds_write_b32 v20, v76 offset:6528                          // 00000000CDD0: D81A1980 00004C14
	ds_write_b32 v20, v80 offset:8704                          // 00000000CDD8: D81A2200 00005014
	ds_write_b32 v20, v84 offset:1088                          // 00000000CDE0: D81A0440 00005414
	ds_write_b32 v20, v88 offset:3264                          // 00000000CDE8: D81A0CC0 00005814
	ds_write_b32 v20, v92 offset:5440                          // 00000000CDF0: D81A1540 00005C14
	ds_write_b32 v20, v96 offset:7616                          // 00000000CDF8: D81A1DC0 00006014
	ds_write_b32 v20, v100 offset:9792                         // 00000000CE00: D81A2640 00006414
	v_lshrrev_b32_e32 v4, 5, v0                                // 00000000CE08: 20080085
	v_xor_b32_e32 v5, 1, v4                                    // 00000000CE0C: 2A0A0881
	s_mul_i32 s60, s65, 1                                      // 00000000CE10: 923C8141
	s_cmp_eq_u32 s88, 0                                        // 00000000CE14: BF068058
	s_cselect_b32 s61, 1, 8                                    // 00000000CE18: 853D8881
	s_mul_i32 s60, s61, s60                                    // 00000000CE1C: 923C3C3D
	v_readlane_b32 s82, v3, 0                                  // 00000000CE20: D2890052 00010103
	s_lshr_b32 s61, s82, 24                                    // 00000000CE28: 8F3D9852
	s_and_b32 s82, s82, 0xffffff                               // 00000000CE2C: 8652FF52 00FFFFFF
	s_mul_i32 s82, s82, s71                                    // 00000000CE34: 92524752
	s_mul_i32 s61, s60, s61                                    // 00000000CE38: 923D3D3C
	s_add_u32 s82, s82, s61                                    // 00000000CE3C: 80523D52
	v_mul_lo_u32 v6, v5, s82                                   // 00000000CE40: D2850006 0000A505
	v_readlane_b32 s82, v3, 1                                  // 00000000CE48: D2890052 00010303
	s_lshr_b32 s61, s82, 24                                    // 00000000CE50: 8F3D9852
	s_and_b32 s82, s82, 0xffffff                               // 00000000CE54: 8652FF52 00FFFFFF
	s_mul_i32 s82, s82, s71                                    // 00000000CE5C: 92524752
	s_mul_i32 s61, s60, s61                                    // 00000000CE60: 923D3D3C
	s_add_u32 s82, s82, s61                                    // 00000000CE64: 80523D52
	v_mul_lo_u32 v7, v4, s82                                   // 00000000CE68: D2850007 0000A504
	v_add_u32_e32 v50, v6, v7                                  // 00000000CE70: 68640F06
	v_readlane_b32 s82, v3, 2                                  // 00000000CE74: D2890052 00010503
	s_lshr_b32 s61, s82, 24                                    // 00000000CE7C: 8F3D9852
	s_and_b32 s82, s82, 0xffffff                               // 00000000CE80: 8652FF52 00FFFFFF
	s_mul_i32 s82, s82, s71                                    // 00000000CE88: 92524752
	s_mul_i32 s61, s60, s61                                    // 00000000CE8C: 923D3D3C
	s_add_u32 s82, s82, s61                                    // 00000000CE90: 80523D52
	v_mul_lo_u32 v6, v5, s82                                   // 00000000CE94: D2850006 0000A505
	v_readlane_b32 s82, v3, 3                                  // 00000000CE9C: D2890052 00010703
	s_lshr_b32 s61, s82, 24                                    // 00000000CEA4: 8F3D9852
	s_and_b32 s82, s82, 0xffffff                               // 00000000CEA8: 8652FF52 00FFFFFF
	s_mul_i32 s82, s82, s71                                    // 00000000CEB0: 92524752
	s_mul_i32 s61, s60, s61                                    // 00000000CEB4: 923D3D3C
	s_add_u32 s82, s82, s61                                    // 00000000CEB8: 80523D52
	v_mul_lo_u32 v7, v4, s82                                   // 00000000CEBC: D2850007 0000A504
	v_add_u32_e32 v51, v6, v7                                  // 00000000CEC4: 68660F06
	v_readlane_b32 s82, v3, 4                                  // 00000000CEC8: D2890052 00010903
	s_lshr_b32 s61, s82, 24                                    // 00000000CED0: 8F3D9852
	s_and_b32 s82, s82, 0xffffff                               // 00000000CED4: 8652FF52 00FFFFFF
	s_mul_i32 s82, s82, s71                                    // 00000000CEDC: 92524752
	s_mul_i32 s61, s60, s61                                    // 00000000CEE0: 923D3D3C
	s_add_u32 s82, s82, s61                                    // 00000000CEE4: 80523D52
	v_mul_lo_u32 v6, v5, s82                                   // 00000000CEE8: D2850006 0000A505
	v_readlane_b32 s82, v3, 5                                  // 00000000CEF0: D2890052 00010B03
	s_lshr_b32 s61, s82, 24                                    // 00000000CEF8: 8F3D9852
	s_and_b32 s82, s82, 0xffffff                               // 00000000CEFC: 8652FF52 00FFFFFF
	s_mul_i32 s82, s82, s71                                    // 00000000CF04: 92524752
	s_mul_i32 s61, s60, s61                                    // 00000000CF08: 923D3D3C
	s_add_u32 s82, s82, s61                                    // 00000000CF0C: 80523D52
	v_mul_lo_u32 v7, v4, s82                                   // 00000000CF10: D2850007 0000A504
	v_add_u32_e32 v52, v6, v7                                  // 00000000CF18: 68680F06
	v_readlane_b32 s82, v3, 6                                  // 00000000CF1C: D2890052 00010D03
	s_lshr_b32 s61, s82, 24                                    // 00000000CF24: 8F3D9852
	s_and_b32 s82, s82, 0xffffff                               // 00000000CF28: 8652FF52 00FFFFFF
	s_mul_i32 s82, s82, s71                                    // 00000000CF30: 92524752
	s_mul_i32 s61, s60, s61                                    // 00000000CF34: 923D3D3C
	s_add_u32 s82, s82, s61                                    // 00000000CF38: 80523D52
	v_mul_lo_u32 v6, v5, s82                                   // 00000000CF3C: D2850006 0000A505
	v_readlane_b32 s82, v3, 7                                  // 00000000CF44: D2890052 00010F03
	s_lshr_b32 s61, s82, 24                                    // 00000000CF4C: 8F3D9852
	s_and_b32 s82, s82, 0xffffff                               // 00000000CF50: 8652FF52 00FFFFFF
	s_mul_i32 s82, s82, s71                                    // 00000000CF58: 92524752
	s_mul_i32 s61, s60, s61                                    // 00000000CF5C: 923D3D3C
	s_add_u32 s82, s82, s61                                    // 00000000CF60: 80523D52
	v_mul_lo_u32 v7, v4, s82                                   // 00000000CF64: D2850007 0000A504
	v_add_u32_e32 v53, v6, v7                                  // 00000000CF6C: 686A0F06
	v_readlane_b32 s82, v3, 8                                  // 00000000CF70: D2890052 00011103
	s_lshr_b32 s61, s82, 24                                    // 00000000CF78: 8F3D9852
	s_and_b32 s82, s82, 0xffffff                               // 00000000CF7C: 8652FF52 00FFFFFF
	s_mul_i32 s82, s82, s71                                    // 00000000CF84: 92524752
	s_mul_i32 s61, s60, s61                                    // 00000000CF88: 923D3D3C
	s_add_u32 s82, s82, s61                                    // 00000000CF8C: 80523D52
	v_mul_lo_u32 v6, v5, s82                                   // 00000000CF90: D2850006 0000A505
	v_readlane_b32 s82, v3, 9                                  // 00000000CF98: D2890052 00011303
	s_lshr_b32 s61, s82, 24                                    // 00000000CFA0: 8F3D9852
	s_and_b32 s82, s82, 0xffffff                               // 00000000CFA4: 8652FF52 00FFFFFF
	s_mul_i32 s82, s82, s71                                    // 00000000CFAC: 92524752
	s_mul_i32 s61, s60, s61                                    // 00000000CFB0: 923D3D3C
	s_add_u32 s82, s82, s61                                    // 00000000CFB4: 80523D52
	v_mul_lo_u32 v7, v4, s82                                   // 00000000CFB8: D2850007 0000A504
	v_add_u32_e32 v54, v6, v7                                  // 00000000CFC0: 686C0F06
	v_readlane_b32 s82, v3, 10                                 // 00000000CFC4: D2890052 00011503
	s_lshr_b32 s61, s82, 24                                    // 00000000CFCC: 8F3D9852
	s_and_b32 s82, s82, 0xffffff                               // 00000000CFD0: 8652FF52 00FFFFFF
	s_mul_i32 s82, s82, s71                                    // 00000000CFD8: 92524752
	s_mul_i32 s61, s60, s61                                    // 00000000CFDC: 923D3D3C
	s_add_u32 s82, s82, s61                                    // 00000000CFE0: 80523D52
	v_mul_lo_u32 v6, v5, s82                                   // 00000000CFE4: D2850006 0000A505
	v_readlane_b32 s82, v3, 11                                 // 00000000CFEC: D2890052 00011703
	s_lshr_b32 s61, s82, 24                                    // 00000000CFF4: 8F3D9852
	s_and_b32 s82, s82, 0xffffff                               // 00000000CFF8: 8652FF52 00FFFFFF
	s_mul_i32 s82, s82, s71                                    // 00000000D000: 92524752
	s_mul_i32 s61, s60, s61                                    // 00000000D004: 923D3D3C
	s_add_u32 s82, s82, s61                                    // 00000000D008: 80523D52
	v_mul_lo_u32 v7, v4, s82                                   // 00000000D00C: D2850007 0000A504
	v_add_u32_e32 v55, v6, v7                                  // 00000000D014: 686E0F06
	v_readlane_b32 s82, v3, 12                                 // 00000000D018: D2890052 00011903
	s_lshr_b32 s61, s82, 24                                    // 00000000D020: 8F3D9852
	s_and_b32 s82, s82, 0xffffff                               // 00000000D024: 8652FF52 00FFFFFF
	s_mul_i32 s82, s82, s71                                    // 00000000D02C: 92524752
	s_mul_i32 s61, s60, s61                                    // 00000000D030: 923D3D3C
	s_add_u32 s82, s82, s61                                    // 00000000D034: 80523D52
	v_mul_lo_u32 v6, v5, s82                                   // 00000000D038: D2850006 0000A505
	v_readlane_b32 s82, v3, 13                                 // 00000000D040: D2890052 00011B03
	s_lshr_b32 s61, s82, 24                                    // 00000000D048: 8F3D9852
	s_and_b32 s82, s82, 0xffffff                               // 00000000D04C: 8652FF52 00FFFFFF
	s_mul_i32 s82, s82, s71                                    // 00000000D054: 92524752
	s_mul_i32 s61, s60, s61                                    // 00000000D058: 923D3D3C
	s_add_u32 s82, s82, s61                                    // 00000000D05C: 80523D52
	v_mul_lo_u32 v7, v4, s82                                   // 00000000D060: D2850007 0000A504
	v_add_u32_e32 v56, v6, v7                                  // 00000000D068: 68700F06
	v_readlane_b32 s82, v3, 14                                 // 00000000D06C: D2890052 00011D03
	s_lshr_b32 s61, s82, 24                                    // 00000000D074: 8F3D9852
	s_and_b32 s82, s82, 0xffffff                               // 00000000D078: 8652FF52 00FFFFFF
	s_mul_i32 s82, s82, s71                                    // 00000000D080: 92524752
	s_mul_i32 s61, s60, s61                                    // 00000000D084: 923D3D3C
	s_add_u32 s82, s82, s61                                    // 00000000D088: 80523D52
	v_mul_lo_u32 v6, v5, s82                                   // 00000000D08C: D2850006 0000A505
	v_readlane_b32 s82, v3, 15                                 // 00000000D094: D2890052 00011F03
	s_lshr_b32 s61, s82, 24                                    // 00000000D09C: 8F3D9852
	s_and_b32 s82, s82, 0xffffff                               // 00000000D0A0: 8652FF52 00FFFFFF
	s_mul_i32 s82, s82, s71                                    // 00000000D0A8: 92524752
	s_mul_i32 s61, s60, s61                                    // 00000000D0AC: 923D3D3C
	s_add_u32 s82, s82, s61                                    // 00000000D0B0: 80523D52
	v_mul_lo_u32 v7, v4, s82                                   // 00000000D0B4: D2850007 0000A504
	v_add_u32_e32 v57, v6, v7                                  // 00000000D0BC: 68720F06
	v_readlane_b32 s82, v3, 16                                 // 00000000D0C0: D2890052 00012103
	s_lshr_b32 s61, s82, 24                                    // 00000000D0C8: 8F3D9852
	s_and_b32 s82, s82, 0xffffff                               // 00000000D0CC: 8652FF52 00FFFFFF
	s_mul_i32 s82, s82, s71                                    // 00000000D0D4: 92524752
	s_mul_i32 s61, s60, s61                                    // 00000000D0D8: 923D3D3C
	s_add_u32 s82, s82, s61                                    // 00000000D0DC: 80523D52
	v_mul_lo_u32 v6, v5, s82                                   // 00000000D0E0: D2850006 0000A505
	v_readlane_b32 s82, v3, 17                                 // 00000000D0E8: D2890052 00012303
	s_lshr_b32 s61, s82, 24                                    // 00000000D0F0: 8F3D9852
	s_and_b32 s82, s82, 0xffffff                               // 00000000D0F4: 8652FF52 00FFFFFF
	s_mul_i32 s82, s82, s71                                    // 00000000D0FC: 92524752
	s_mul_i32 s61, s60, s61                                    // 00000000D100: 923D3D3C
	s_add_u32 s82, s82, s61                                    // 00000000D104: 80523D52
	v_mul_lo_u32 v7, v4, s82                                   // 00000000D108: D2850007 0000A504
	v_add_u32_e32 v58, v6, v7                                  // 00000000D110: 68740F06
	v_readlane_b32 s82, v3, 18                                 // 00000000D114: D2890052 00012503
	s_lshr_b32 s61, s82, 24                                    // 00000000D11C: 8F3D9852
	s_and_b32 s82, s82, 0xffffff                               // 00000000D120: 8652FF52 00FFFFFF
	s_mul_i32 s82, s82, s71                                    // 00000000D128: 92524752
	s_mul_i32 s61, s60, s61                                    // 00000000D12C: 923D3D3C
	s_add_u32 s82, s82, s61                                    // 00000000D130: 80523D52
	v_mul_lo_u32 v6, v5, s82                                   // 00000000D134: D2850006 0000A505
	v_readlane_b32 s82, v3, 19                                 // 00000000D13C: D2890052 00012703
	s_lshr_b32 s61, s82, 24                                    // 00000000D144: 8F3D9852
	s_and_b32 s82, s82, 0xffffff                               // 00000000D148: 8652FF52 00FFFFFF
	s_mul_i32 s82, s82, s71                                    // 00000000D150: 92524752
	s_mul_i32 s61, s60, s61                                    // 00000000D154: 923D3D3C
	s_add_u32 s82, s82, s61                                    // 00000000D158: 80523D52
	v_mul_lo_u32 v7, v4, s82                                   // 00000000D15C: D2850007 0000A504
	v_add_u32_e32 v59, v6, v7                                  // 00000000D164: 68760F06
	v_and_b32_e32 v4, 31, v0                                   // 00000000D168: 2608009F
	v_lshrrev_b32_e32 v4, 1, v4                                // 00000000D16C: 20080881
	s_cmp_eq_u32 s88, 0                                        // 00000000D170: BF068058
	s_cselect_b32 s61, 2, 4                                    // 00000000D174: 853D8482
	v_mul_lo_u32 v4, v4, s61                                   // 00000000D178: D2850004 00007B04
	v_and_b32_e64 v5, v0, 1                                    // 00000000D180: D1130005 00010300
	v_add_u32_e32 v4, v4, v5                                   // 00000000D188: 68080B04
	v_lshlrev_b32_e32 v4, 2, v4                                // 00000000D18C: 24080882
	v_add_u32_e32 v50, v50, v4                                 // 00000000D190: 68640932
	v_add_u32_e32 v51, v51, v4                                 // 00000000D194: 68660933
	v_add_u32_e32 v52, v52, v4                                 // 00000000D198: 68680934
	v_add_u32_e32 v53, v53, v4                                 // 00000000D19C: 686A0935
	v_add_u32_e32 v54, v54, v4                                 // 00000000D1A0: 686C0936
	v_add_u32_e32 v55, v55, v4                                 // 00000000D1A4: 686E0937
	v_add_u32_e32 v56, v56, v4                                 // 00000000D1A8: 68700938
	v_add_u32_e32 v57, v57, v4                                 // 00000000D1AC: 68720939
	v_add_u32_e32 v58, v58, v4                                 // 00000000D1B0: 6874093A
	v_add_u32_e32 v59, v59, v4                                 // 00000000D1B4: 6876093B
	s_waitcnt lgkmcnt(0)                                       // 00000000D1B8: BF8CC07F
	s_barrier                                                  // 00000000D1BC: BF8A0000
	ds_read_b32 v64, v21                                       // 00000000D1C0: D86C0000 40000015
	ds_read_b32 v65, v21 offset:64                             // 00000000D1C8: D86C0040 41000015
	ds_read_b32 v66, v21 offset:2176                           // 00000000D1D0: D86C0880 42000015
	ds_read_b32 v67, v21 offset:2240                           // 00000000D1D8: D86C08C0 43000015
	ds_read_b32 v68, v21 offset:4352                           // 00000000D1E0: D86C1100 44000015
	ds_read_b32 v69, v21 offset:4416                           // 00000000D1E8: D86C1140 45000015
	ds_read_b32 v70, v21 offset:6528                           // 00000000D1F0: D86C1980 46000015
	ds_read_b32 v71, v21 offset:6592                           // 00000000D1F8: D86C19C0 47000015
	ds_read_b32 v72, v21 offset:8704                           // 00000000D200: D86C2200 48000015
	ds_read_b32 v73, v21 offset:8768                           // 00000000D208: D86C2240 49000015
	s_waitcnt lgkmcnt(0)                                       // 00000000D210: BF8CC07F
	s_mov_b32 s36, -1                                          // 00000000D214: BEA400C1
	s_mov_b32 s37, -1                                          // 00000000D218: BEA500C1
	v_mov_b32_e32 v7, 0                                        // 00000000D21C: 7E0E0280
	s_or_b32 s9, s9, 0x40000                                   // 00000000D220: 8709FF09 00040000
	s_mov_b64 exec, s[36:37]                                   // 00000000D228: BEFE0124
	v_mov_b32_e32 v6, v50                                      // 00000000D22C: 7E0C0332
	s_mov_b64 s[60:61], 0                                      // 00000000D230: BEBC0180
	v_readlane_b32 s82, v3, 0                                  // 00000000D234: D2890052 00010103
	s_and_b32 s82, s82, 0xffffff                               // 00000000D23C: 8652FF52 00FFFFFF
	s_cmp_lt_u32 s82, s66                                      // 00000000D244: BF0A4252
	s_cselect_b32 s20, s36, s60                                // 00000000D248: 85143C24
	v_readlane_b32 s82, v3, 1                                  // 00000000D24C: D2890052 00010303
	s_and_b32 s82, s82, 0xffffff                               // 00000000D254: 8652FF52 00FFFFFF
	s_cmp_lt_u32 s82, s66                                      // 00000000D25C: BF0A4252
	s_cselect_b32 s21, s36, s60                                // 00000000D260: 85153C24
	s_mov_b64 exec, s[20:21]                                   // 00000000D264: BEFE0114
	buffer_store_dword v64, v6, s[8:11], 0 offen               // 00000000D268: E0701000 80024006
	s_mov_b64 exec, s[36:37]                                   // 00000000D270: BEFE0124
	v_mov_b32_e32 v6, v51                                      // 00000000D274: 7E0C0333
	s_mov_b64 s[60:61], 0                                      // 00000000D278: BEBC0180
	v_readlane_b32 s82, v3, 2                                  // 00000000D27C: D2890052 00010503
	s_and_b32 s82, s82, 0xffffff                               // 00000000D284: 8652FF52 00FFFFFF
	s_cmp_lt_u32 s82, s66                                      // 00000000D28C: BF0A4252
	s_cselect_b32 s20, s36, s60                                // 00000000D290: 85143C24
	v_readlane_b32 s82, v3, 3                                  // 00000000D294: D2890052 00010703
	s_and_b32 s82, s82, 0xffffff                               // 00000000D29C: 8652FF52 00FFFFFF
	s_cmp_lt_u32 s82, s66                                      // 00000000D2A4: BF0A4252
	s_cselect_b32 s21, s36, s60                                // 00000000D2A8: 85153C24
	s_mov_b64 exec, s[20:21]                                   // 00000000D2AC: BEFE0114
	buffer_store_dword v65, v6, s[8:11], 0 offen               // 00000000D2B0: E0701000 80024106
	s_mov_b64 exec, s[36:37]                                   // 00000000D2B8: BEFE0124
	v_mov_b32_e32 v6, v52                                      // 00000000D2BC: 7E0C0334
	s_mov_b64 s[60:61], 0                                      // 00000000D2C0: BEBC0180
	v_readlane_b32 s82, v3, 4                                  // 00000000D2C4: D2890052 00010903
	s_and_b32 s82, s82, 0xffffff                               // 00000000D2CC: 8652FF52 00FFFFFF
	s_cmp_lt_u32 s82, s66                                      // 00000000D2D4: BF0A4252
	s_cselect_b32 s20, s36, s60                                // 00000000D2D8: 85143C24
	v_readlane_b32 s82, v3, 5                                  // 00000000D2DC: D2890052 00010B03
	s_and_b32 s82, s82, 0xffffff                               // 00000000D2E4: 8652FF52 00FFFFFF
	s_cmp_lt_u32 s82, s66                                      // 00000000D2EC: BF0A4252
	s_cselect_b32 s21, s36, s60                                // 00000000D2F0: 85153C24
	s_mov_b64 exec, s[20:21]                                   // 00000000D2F4: BEFE0114
	buffer_store_dword v66, v6, s[8:11], 0 offen               // 00000000D2F8: E0701000 80024206
	s_mov_b64 exec, s[36:37]                                   // 00000000D300: BEFE0124
	v_mov_b32_e32 v6, v53                                      // 00000000D304: 7E0C0335
	s_mov_b64 s[60:61], 0                                      // 00000000D308: BEBC0180
	v_readlane_b32 s82, v3, 6                                  // 00000000D30C: D2890052 00010D03
	s_and_b32 s82, s82, 0xffffff                               // 00000000D314: 8652FF52 00FFFFFF
	s_cmp_lt_u32 s82, s66                                      // 00000000D31C: BF0A4252
	s_cselect_b32 s20, s36, s60                                // 00000000D320: 85143C24
	v_readlane_b32 s82, v3, 7                                  // 00000000D324: D2890052 00010F03
	s_and_b32 s82, s82, 0xffffff                               // 00000000D32C: 8652FF52 00FFFFFF
	s_cmp_lt_u32 s82, s66                                      // 00000000D334: BF0A4252
	s_cselect_b32 s21, s36, s60                                // 00000000D338: 85153C24
	s_mov_b64 exec, s[20:21]                                   // 00000000D33C: BEFE0114
	buffer_store_dword v67, v6, s[8:11], 0 offen               // 00000000D340: E0701000 80024306
	s_mov_b64 exec, s[36:37]                                   // 00000000D348: BEFE0124
	v_mov_b32_e32 v6, v54                                      // 00000000D34C: 7E0C0336
	s_mov_b64 s[60:61], 0                                      // 00000000D350: BEBC0180
	v_readlane_b32 s82, v3, 8                                  // 00000000D354: D2890052 00011103
	s_and_b32 s82, s82, 0xffffff                               // 00000000D35C: 8652FF52 00FFFFFF
	s_cmp_lt_u32 s82, s66                                      // 00000000D364: BF0A4252
	s_cselect_b32 s20, s36, s60                                // 00000000D368: 85143C24
	v_readlane_b32 s82, v3, 9                                  // 00000000D36C: D2890052 00011303
	s_and_b32 s82, s82, 0xffffff                               // 00000000D374: 8652FF52 00FFFFFF
	s_cmp_lt_u32 s82, s66                                      // 00000000D37C: BF0A4252
	s_cselect_b32 s21, s36, s60                                // 00000000D380: 85153C24
	s_mov_b64 exec, s[20:21]                                   // 00000000D384: BEFE0114
	buffer_store_dword v68, v6, s[8:11], 0 offen               // 00000000D388: E0701000 80024406
	s_mov_b64 exec, s[36:37]                                   // 00000000D390: BEFE0124
	v_mov_b32_e32 v6, v55                                      // 00000000D394: 7E0C0337
	s_mov_b64 s[60:61], 0                                      // 00000000D398: BEBC0180
	v_readlane_b32 s82, v3, 10                                 // 00000000D39C: D2890052 00011503
	s_and_b32 s82, s82, 0xffffff                               // 00000000D3A4: 8652FF52 00FFFFFF
	s_cmp_lt_u32 s82, s66                                      // 00000000D3AC: BF0A4252
	s_cselect_b32 s20, s36, s60                                // 00000000D3B0: 85143C24
	v_readlane_b32 s82, v3, 11                                 // 00000000D3B4: D2890052 00011703
	s_and_b32 s82, s82, 0xffffff                               // 00000000D3BC: 8652FF52 00FFFFFF
	s_cmp_lt_u32 s82, s66                                      // 00000000D3C4: BF0A4252
	s_cselect_b32 s21, s36, s60                                // 00000000D3C8: 85153C24
	s_mov_b64 exec, s[20:21]                                   // 00000000D3CC: BEFE0114
	buffer_store_dword v69, v6, s[8:11], 0 offen               // 00000000D3D0: E0701000 80024506
	s_mov_b64 exec, s[36:37]                                   // 00000000D3D8: BEFE0124
	v_mov_b32_e32 v6, v56                                      // 00000000D3DC: 7E0C0338
	s_mov_b64 s[60:61], 0                                      // 00000000D3E0: BEBC0180
	v_readlane_b32 s82, v3, 12                                 // 00000000D3E4: D2890052 00011903
	s_and_b32 s82, s82, 0xffffff                               // 00000000D3EC: 8652FF52 00FFFFFF
	s_cmp_lt_u32 s82, s66                                      // 00000000D3F4: BF0A4252
	s_cselect_b32 s20, s36, s60                                // 00000000D3F8: 85143C24
	v_readlane_b32 s82, v3, 13                                 // 00000000D3FC: D2890052 00011B03
	s_and_b32 s82, s82, 0xffffff                               // 00000000D404: 8652FF52 00FFFFFF
	s_cmp_lt_u32 s82, s66                                      // 00000000D40C: BF0A4252
	s_cselect_b32 s21, s36, s60                                // 00000000D410: 85153C24
	s_mov_b64 exec, s[20:21]                                   // 00000000D414: BEFE0114
	buffer_store_dword v70, v6, s[8:11], 0 offen               // 00000000D418: E0701000 80024606
	s_mov_b64 exec, s[36:37]                                   // 00000000D420: BEFE0124
	v_mov_b32_e32 v6, v57                                      // 00000000D424: 7E0C0339
	s_mov_b64 s[60:61], 0                                      // 00000000D428: BEBC0180
	v_readlane_b32 s82, v3, 14                                 // 00000000D42C: D2890052 00011D03
	s_and_b32 s82, s82, 0xffffff                               // 00000000D434: 8652FF52 00FFFFFF
	s_cmp_lt_u32 s82, s66                                      // 00000000D43C: BF0A4252
	s_cselect_b32 s20, s36, s60                                // 00000000D440: 85143C24
	v_readlane_b32 s82, v3, 15                                 // 00000000D444: D2890052 00011F03
	s_and_b32 s82, s82, 0xffffff                               // 00000000D44C: 8652FF52 00FFFFFF
	s_cmp_lt_u32 s82, s66                                      // 00000000D454: BF0A4252
	s_cselect_b32 s21, s36, s60                                // 00000000D458: 85153C24
	s_mov_b64 exec, s[20:21]                                   // 00000000D45C: BEFE0114
	buffer_store_dword v71, v6, s[8:11], 0 offen               // 00000000D460: E0701000 80024706
	s_mov_b64 exec, s[36:37]                                   // 00000000D468: BEFE0124
	v_mov_b32_e32 v6, v58                                      // 00000000D46C: 7E0C033A
	s_mov_b64 s[60:61], 0                                      // 00000000D470: BEBC0180
	v_readlane_b32 s82, v3, 16                                 // 00000000D474: D2890052 00012103
	s_and_b32 s82, s82, 0xffffff                               // 00000000D47C: 8652FF52 00FFFFFF
	s_cmp_lt_u32 s82, s66                                      // 00000000D484: BF0A4252
	s_cselect_b32 s20, s36, s60                                // 00000000D488: 85143C24
	v_readlane_b32 s82, v3, 17                                 // 00000000D48C: D2890052 00012303
	s_and_b32 s82, s82, 0xffffff                               // 00000000D494: 8652FF52 00FFFFFF
	s_cmp_lt_u32 s82, s66                                      // 00000000D49C: BF0A4252
	s_cselect_b32 s21, s36, s60                                // 00000000D4A0: 85153C24
	s_mov_b64 exec, s[20:21]                                   // 00000000D4A4: BEFE0114
	buffer_store_dword v72, v6, s[8:11], 0 offen               // 00000000D4A8: E0701000 80024806
	s_mov_b64 exec, s[36:37]                                   // 00000000D4B0: BEFE0124
	v_mov_b32_e32 v6, v59                                      // 00000000D4B4: 7E0C033B
	s_mov_b64 s[60:61], 0                                      // 00000000D4B8: BEBC0180
	v_readlane_b32 s82, v3, 18                                 // 00000000D4BC: D2890052 00012503
	s_and_b32 s82, s82, 0xffffff                               // 00000000D4C4: 8652FF52 00FFFFFF
	s_cmp_lt_u32 s82, s66                                      // 00000000D4CC: BF0A4252
	s_cselect_b32 s20, s36, s60                                // 00000000D4D0: 85143C24
	v_readlane_b32 s82, v3, 19                                 // 00000000D4D4: D2890052 00012703
	s_and_b32 s82, s82, 0xffffff                               // 00000000D4DC: 8652FF52 00FFFFFF
	s_cmp_lt_u32 s82, s66                                      // 00000000D4E4: BF0A4252
	s_cselect_b32 s21, s36, s60                                // 00000000D4E8: 85153C24
	s_mov_b64 exec, s[20:21]                                   // 00000000D4EC: BEFE0114
	buffer_store_dword v73, v6, s[8:11], 0 offen               // 00000000D4F0: E0701000 80024906
	s_mov_b64 exec, s[36:37]                                   // 00000000D4F8: BEFE0124
	s_cmp_eq_u32 s7, 0                                         // 00000000D4FC: BF068007
	s_cbranch_scc0 label_3020                                  // 00000000D500: BF84055C
	s_waitcnt vmcnt(10)                                        // 00000000D504: BF8C0F7A
	s_mov_b32 s8, s90                                          // 00000000D508: BE88005A
	s_mov_b32 s9, s91                                          // 00000000D50C: BE89005B
	s_mul_i32 s60, s66, s71                                    // 00000000D510: 923C4742
	s_add_u32 s8, s60, s8                                      // 00000000D514: 8008083C
	s_addc_u32 s9, 0, s9                                       // 00000000D518: 82090980
	s_lshr_b32 s71, s71, 5                                     // 00000000D51C: 8F478547
	s_mul_i32 s60, s66, s71                                    // 00000000D520: 923C4742
	s_mov_b32 s10, s60                                         // 00000000D524: BE8A003C
	s_lshr_b32 s61, s65, 5                                     // 00000000D528: 8F3D8541
	s_mul_i32 s60, s2, 4                                       // 00000000D52C: 923C8402
	v_lshrrev_b32_e32 v4, 24, v30                              // 00000000D530: 20083C98
	v_mul_lo_u32 v4, s61, v4                                   // 00000000D534: D2850004 0002083D
	v_and_b32_e32 v30, 0xffffff, v30                           // 00000000D53C: 263C3CFF 00FFFFFF
	v_mul_lo_u32 v30, s71, v30                                 // 00000000D544: D285001E 00023C47
	v_add_u32_e32 v30, v4, v30                                 // 00000000D54C: 683C3D04
	v_add_u32_e32 v30, s60, v30                                // 00000000D550: 683C3C3C
	v_lshrrev_b32_e32 v4, 24, v31                              // 00000000D554: 20083E98
	v_mul_lo_u32 v4, s61, v4                                   // 00000000D558: D2850004 0002083D
	v_and_b32_e32 v31, 0xffffff, v31                           // 00000000D560: 263E3EFF 00FFFFFF
	v_mul_lo_u32 v31, s71, v31                                 // 00000000D568: D285001F 00023E47
	v_add_u32_e32 v31, v4, v31                                 // 00000000D570: 683E3F04
	v_add_u32_e32 v31, s60, v31                                // 00000000D574: 683E3E3C
	v_lshrrev_b32_e32 v4, 24, v32                              // 00000000D578: 20084098
	v_mul_lo_u32 v4, s61, v4                                   // 00000000D57C: D2850004 0002083D
	v_and_b32_e32 v32, 0xffffff, v32                           // 00000000D584: 264040FF 00FFFFFF
	v_mul_lo_u32 v32, s71, v32                                 // 00000000D58C: D2850020 00024047
	v_add_u32_e32 v32, v4, v32                                 // 00000000D594: 68404104
	v_add_u32_e32 v32, s60, v32                                // 00000000D598: 6840403C
	v_lshrrev_b32_e32 v4, 24, v33                              // 00000000D59C: 20084298
	v_mul_lo_u32 v4, s61, v4                                   // 00000000D5A0: D2850004 0002083D
	v_and_b32_e32 v33, 0xffffff, v33                           // 00000000D5A8: 264242FF 00FFFFFF
	v_mul_lo_u32 v33, s71, v33                                 // 00000000D5B0: D2850021 00024247
	v_add_u32_e32 v33, v4, v33                                 // 00000000D5B8: 68424304
	v_add_u32_e32 v33, s60, v33                                // 00000000D5BC: 6842423C
	v_lshrrev_b32_e32 v4, 24, v34                              // 00000000D5C0: 20084498
	v_mul_lo_u32 v4, s61, v4                                   // 00000000D5C4: D2850004 0002083D
	v_and_b32_e32 v34, 0xffffff, v34                           // 00000000D5CC: 264444FF 00FFFFFF
	v_mul_lo_u32 v34, s71, v34                                 // 00000000D5D4: D2850022 00024447
	v_add_u32_e32 v34, v4, v34                                 // 00000000D5DC: 68444504
	v_add_u32_e32 v34, s60, v34                                // 00000000D5E0: 6844443C
	s_mov_b64 exec, 0xffff                                     // 00000000D5E4: BEFE01FF 0000FFFF
	buffer_store_dword v104, v30, s[8:11], 0 offen             // 00000000D5EC: E0701000 8002681E
	buffer_store_dword v105, v31, s[8:11], 0 offen             // 00000000D5F4: E0701000 8002691F
	buffer_store_dword v106, v32, s[8:11], 0 offen             // 00000000D5FC: E0701000 80026A20
	buffer_store_dword v107, v33, s[8:11], 0 offen             // 00000000D604: E0701000 80026B21
	buffer_store_dword v108, v34, s[8:11], 0 offen             // 00000000D60C: E0701000 80026C22
	s_mov_b64 exec, s[36:37]                                   // 00000000D614: BEFE0124
	s_branch label_3020                                        // 00000000D618: BF820516

000000000000d61c <label_2B0A>:
	ds_write_b64 v20, v[64:65]                                 // 00000000D61C: D89A0000 00004014
	ds_write_b64 v20, v[68:69] offset:4352                     // 00000000D624: D89A1100 00004414
	ds_write_b64 v20, v[72:73] offset:8704                     // 00000000D62C: D89A2200 00004814
	ds_write_b64 v20, v[76:77] offset:13056                    // 00000000D634: D89A3300 00004C14
	ds_write_b64 v20, v[80:81] offset:17408                    // 00000000D63C: D89A4400 00005014
	ds_write_b64 v20, v[84:85] offset:2176                     // 00000000D644: D89A0880 00005414
	ds_write_b64 v20, v[88:89] offset:6528                     // 00000000D64C: D89A1980 00005814
	ds_write_b64 v20, v[92:93] offset:10880                    // 00000000D654: D89A2A80 00005C14
	ds_write_b64 v20, v[96:97] offset:15232                    // 00000000D65C: D89A3B80 00006014
	ds_write_b64 v20, v[100:101] offset:19584                  // 00000000D664: D89A4C80 00006414
	v_lshrrev_b32_e32 v4, 5, v0                                // 00000000D66C: 20080085
	v_xor_b32_e32 v5, 1, v4                                    // 00000000D670: 2A0A0881
	s_mul_i32 s60, s65, 1                                      // 00000000D674: 923C8141
	s_cmp_eq_u32 s88, 0                                        // 00000000D678: BF068058
	s_cselect_b32 s61, 1, 8                                    // 00000000D67C: 853D8881
	s_mul_i32 s60, s61, s60                                    // 00000000D680: 923C3C3D
	v_readlane_b32 s82, v3, 0                                  // 00000000D684: D2890052 00010103
	s_lshr_b32 s61, s82, 24                                    // 00000000D68C: 8F3D9852
	s_and_b32 s82, s82, 0xffffff                               // 00000000D690: 8652FF52 00FFFFFF
	s_mul_i32 s82, s82, s71                                    // 00000000D698: 92524752
	s_mul_i32 s61, s60, s61                                    // 00000000D69C: 923D3D3C
	s_add_u32 s82, s82, s61                                    // 00000000D6A0: 80523D52
	v_mul_lo_u32 v6, v5, s82                                   // 00000000D6A4: D2850006 0000A505
	v_readlane_b32 s82, v3, 1                                  // 00000000D6AC: D2890052 00010303
	s_lshr_b32 s61, s82, 24                                    // 00000000D6B4: 8F3D9852
	s_and_b32 s82, s82, 0xffffff                               // 00000000D6B8: 8652FF52 00FFFFFF
	s_mul_i32 s82, s82, s71                                    // 00000000D6C0: 92524752
	s_mul_i32 s61, s60, s61                                    // 00000000D6C4: 923D3D3C
	s_add_u32 s82, s82, s61                                    // 00000000D6C8: 80523D52
	v_mul_lo_u32 v7, v4, s82                                   // 00000000D6CC: D2850007 0000A504
	v_add_u32_e32 v50, v6, v7                                  // 00000000D6D4: 68640F06
	v_readlane_b32 s82, v3, 2                                  // 00000000D6D8: D2890052 00010503
	s_lshr_b32 s61, s82, 24                                    // 00000000D6E0: 8F3D9852
	s_and_b32 s82, s82, 0xffffff                               // 00000000D6E4: 8652FF52 00FFFFFF
	s_mul_i32 s82, s82, s71                                    // 00000000D6EC: 92524752
	s_mul_i32 s61, s60, s61                                    // 00000000D6F0: 923D3D3C
	s_add_u32 s82, s82, s61                                    // 00000000D6F4: 80523D52
	v_mul_lo_u32 v6, v5, s82                                   // 00000000D6F8: D2850006 0000A505
	v_readlane_b32 s82, v3, 3                                  // 00000000D700: D2890052 00010703
	s_lshr_b32 s61, s82, 24                                    // 00000000D708: 8F3D9852
	s_and_b32 s82, s82, 0xffffff                               // 00000000D70C: 8652FF52 00FFFFFF
	s_mul_i32 s82, s82, s71                                    // 00000000D714: 92524752
	s_mul_i32 s61, s60, s61                                    // 00000000D718: 923D3D3C
	s_add_u32 s82, s82, s61                                    // 00000000D71C: 80523D52
	v_mul_lo_u32 v7, v4, s82                                   // 00000000D720: D2850007 0000A504
	v_add_u32_e32 v51, v6, v7                                  // 00000000D728: 68660F06
	v_readlane_b32 s82, v3, 4                                  // 00000000D72C: D2890052 00010903
	s_lshr_b32 s61, s82, 24                                    // 00000000D734: 8F3D9852
	s_and_b32 s82, s82, 0xffffff                               // 00000000D738: 8652FF52 00FFFFFF
	s_mul_i32 s82, s82, s71                                    // 00000000D740: 92524752
	s_mul_i32 s61, s60, s61                                    // 00000000D744: 923D3D3C
	s_add_u32 s82, s82, s61                                    // 00000000D748: 80523D52
	v_mul_lo_u32 v6, v5, s82                                   // 00000000D74C: D2850006 0000A505
	v_readlane_b32 s82, v3, 5                                  // 00000000D754: D2890052 00010B03
	s_lshr_b32 s61, s82, 24                                    // 00000000D75C: 8F3D9852
	s_and_b32 s82, s82, 0xffffff                               // 00000000D760: 8652FF52 00FFFFFF
	s_mul_i32 s82, s82, s71                                    // 00000000D768: 92524752
	s_mul_i32 s61, s60, s61                                    // 00000000D76C: 923D3D3C
	s_add_u32 s82, s82, s61                                    // 00000000D770: 80523D52
	v_mul_lo_u32 v7, v4, s82                                   // 00000000D774: D2850007 0000A504
	v_add_u32_e32 v52, v6, v7                                  // 00000000D77C: 68680F06
	v_readlane_b32 s82, v3, 6                                  // 00000000D780: D2890052 00010D03
	s_lshr_b32 s61, s82, 24                                    // 00000000D788: 8F3D9852
	s_and_b32 s82, s82, 0xffffff                               // 00000000D78C: 8652FF52 00FFFFFF
	s_mul_i32 s82, s82, s71                                    // 00000000D794: 92524752
	s_mul_i32 s61, s60, s61                                    // 00000000D798: 923D3D3C
	s_add_u32 s82, s82, s61                                    // 00000000D79C: 80523D52
	v_mul_lo_u32 v6, v5, s82                                   // 00000000D7A0: D2850006 0000A505
	v_readlane_b32 s82, v3, 7                                  // 00000000D7A8: D2890052 00010F03
	s_lshr_b32 s61, s82, 24                                    // 00000000D7B0: 8F3D9852
	s_and_b32 s82, s82, 0xffffff                               // 00000000D7B4: 8652FF52 00FFFFFF
	s_mul_i32 s82, s82, s71                                    // 00000000D7BC: 92524752
	s_mul_i32 s61, s60, s61                                    // 00000000D7C0: 923D3D3C
	s_add_u32 s82, s82, s61                                    // 00000000D7C4: 80523D52
	v_mul_lo_u32 v7, v4, s82                                   // 00000000D7C8: D2850007 0000A504
	v_add_u32_e32 v53, v6, v7                                  // 00000000D7D0: 686A0F06
	v_readlane_b32 s82, v3, 8                                  // 00000000D7D4: D2890052 00011103
	s_lshr_b32 s61, s82, 24                                    // 00000000D7DC: 8F3D9852
	s_and_b32 s82, s82, 0xffffff                               // 00000000D7E0: 8652FF52 00FFFFFF
	s_mul_i32 s82, s82, s71                                    // 00000000D7E8: 92524752
	s_mul_i32 s61, s60, s61                                    // 00000000D7EC: 923D3D3C
	s_add_u32 s82, s82, s61                                    // 00000000D7F0: 80523D52
	v_mul_lo_u32 v6, v5, s82                                   // 00000000D7F4: D2850006 0000A505
	v_readlane_b32 s82, v3, 9                                  // 00000000D7FC: D2890052 00011303
	s_lshr_b32 s61, s82, 24                                    // 00000000D804: 8F3D9852
	s_and_b32 s82, s82, 0xffffff                               // 00000000D808: 8652FF52 00FFFFFF
	s_mul_i32 s82, s82, s71                                    // 00000000D810: 92524752
	s_mul_i32 s61, s60, s61                                    // 00000000D814: 923D3D3C
	s_add_u32 s82, s82, s61                                    // 00000000D818: 80523D52
	v_mul_lo_u32 v7, v4, s82                                   // 00000000D81C: D2850007 0000A504
	v_add_u32_e32 v54, v6, v7                                  // 00000000D824: 686C0F06
	v_readlane_b32 s82, v3, 10                                 // 00000000D828: D2890052 00011503
	s_lshr_b32 s61, s82, 24                                    // 00000000D830: 8F3D9852
	s_and_b32 s82, s82, 0xffffff                               // 00000000D834: 8652FF52 00FFFFFF
	s_mul_i32 s82, s82, s71                                    // 00000000D83C: 92524752
	s_mul_i32 s61, s60, s61                                    // 00000000D840: 923D3D3C
	s_add_u32 s82, s82, s61                                    // 00000000D844: 80523D52
	v_mul_lo_u32 v6, v5, s82                                   // 00000000D848: D2850006 0000A505
	v_readlane_b32 s82, v3, 11                                 // 00000000D850: D2890052 00011703
	s_lshr_b32 s61, s82, 24                                    // 00000000D858: 8F3D9852
	s_and_b32 s82, s82, 0xffffff                               // 00000000D85C: 8652FF52 00FFFFFF
	s_mul_i32 s82, s82, s71                                    // 00000000D864: 92524752
	s_mul_i32 s61, s60, s61                                    // 00000000D868: 923D3D3C
	s_add_u32 s82, s82, s61                                    // 00000000D86C: 80523D52
	v_mul_lo_u32 v7, v4, s82                                   // 00000000D870: D2850007 0000A504
	v_add_u32_e32 v55, v6, v7                                  // 00000000D878: 686E0F06
	v_readlane_b32 s82, v3, 12                                 // 00000000D87C: D2890052 00011903
	s_lshr_b32 s61, s82, 24                                    // 00000000D884: 8F3D9852
	s_and_b32 s82, s82, 0xffffff                               // 00000000D888: 8652FF52 00FFFFFF
	s_mul_i32 s82, s82, s71                                    // 00000000D890: 92524752
	s_mul_i32 s61, s60, s61                                    // 00000000D894: 923D3D3C
	s_add_u32 s82, s82, s61                                    // 00000000D898: 80523D52
	v_mul_lo_u32 v6, v5, s82                                   // 00000000D89C: D2850006 0000A505
	v_readlane_b32 s82, v3, 13                                 // 00000000D8A4: D2890052 00011B03
	s_lshr_b32 s61, s82, 24                                    // 00000000D8AC: 8F3D9852
	s_and_b32 s82, s82, 0xffffff                               // 00000000D8B0: 8652FF52 00FFFFFF
	s_mul_i32 s82, s82, s71                                    // 00000000D8B8: 92524752
	s_mul_i32 s61, s60, s61                                    // 00000000D8BC: 923D3D3C
	s_add_u32 s82, s82, s61                                    // 00000000D8C0: 80523D52
	v_mul_lo_u32 v7, v4, s82                                   // 00000000D8C4: D2850007 0000A504
	v_add_u32_e32 v56, v6, v7                                  // 00000000D8CC: 68700F06
	v_readlane_b32 s82, v3, 14                                 // 00000000D8D0: D2890052 00011D03
	s_lshr_b32 s61, s82, 24                                    // 00000000D8D8: 8F3D9852
	s_and_b32 s82, s82, 0xffffff                               // 00000000D8DC: 8652FF52 00FFFFFF
	s_mul_i32 s82, s82, s71                                    // 00000000D8E4: 92524752
	s_mul_i32 s61, s60, s61                                    // 00000000D8E8: 923D3D3C
	s_add_u32 s82, s82, s61                                    // 00000000D8EC: 80523D52
	v_mul_lo_u32 v6, v5, s82                                   // 00000000D8F0: D2850006 0000A505
	v_readlane_b32 s82, v3, 15                                 // 00000000D8F8: D2890052 00011F03
	s_lshr_b32 s61, s82, 24                                    // 00000000D900: 8F3D9852
	s_and_b32 s82, s82, 0xffffff                               // 00000000D904: 8652FF52 00FFFFFF
	s_mul_i32 s82, s82, s71                                    // 00000000D90C: 92524752
	s_mul_i32 s61, s60, s61                                    // 00000000D910: 923D3D3C
	s_add_u32 s82, s82, s61                                    // 00000000D914: 80523D52
	v_mul_lo_u32 v7, v4, s82                                   // 00000000D918: D2850007 0000A504
	v_add_u32_e32 v57, v6, v7                                  // 00000000D920: 68720F06
	v_readlane_b32 s82, v3, 16                                 // 00000000D924: D2890052 00012103
	s_lshr_b32 s61, s82, 24                                    // 00000000D92C: 8F3D9852
	s_and_b32 s82, s82, 0xffffff                               // 00000000D930: 8652FF52 00FFFFFF
	s_mul_i32 s82, s82, s71                                    // 00000000D938: 92524752
	s_mul_i32 s61, s60, s61                                    // 00000000D93C: 923D3D3C
	s_add_u32 s82, s82, s61                                    // 00000000D940: 80523D52
	v_mul_lo_u32 v6, v5, s82                                   // 00000000D944: D2850006 0000A505
	v_readlane_b32 s82, v3, 17                                 // 00000000D94C: D2890052 00012303
	s_lshr_b32 s61, s82, 24                                    // 00000000D954: 8F3D9852
	s_and_b32 s82, s82, 0xffffff                               // 00000000D958: 8652FF52 00FFFFFF
	s_mul_i32 s82, s82, s71                                    // 00000000D960: 92524752
	s_mul_i32 s61, s60, s61                                    // 00000000D964: 923D3D3C
	s_add_u32 s82, s82, s61                                    // 00000000D968: 80523D52
	v_mul_lo_u32 v7, v4, s82                                   // 00000000D96C: D2850007 0000A504
	v_add_u32_e32 v58, v6, v7                                  // 00000000D974: 68740F06
	v_readlane_b32 s82, v3, 18                                 // 00000000D978: D2890052 00012503
	s_lshr_b32 s61, s82, 24                                    // 00000000D980: 8F3D9852
	s_and_b32 s82, s82, 0xffffff                               // 00000000D984: 8652FF52 00FFFFFF
	s_mul_i32 s82, s82, s71                                    // 00000000D98C: 92524752
	s_mul_i32 s61, s60, s61                                    // 00000000D990: 923D3D3C
	s_add_u32 s82, s82, s61                                    // 00000000D994: 80523D52
	v_mul_lo_u32 v6, v5, s82                                   // 00000000D998: D2850006 0000A505
	v_readlane_b32 s82, v3, 19                                 // 00000000D9A0: D2890052 00012703
	s_lshr_b32 s61, s82, 24                                    // 00000000D9A8: 8F3D9852
	s_and_b32 s82, s82, 0xffffff                               // 00000000D9AC: 8652FF52 00FFFFFF
	s_mul_i32 s82, s82, s71                                    // 00000000D9B4: 92524752
	s_mul_i32 s61, s60, s61                                    // 00000000D9B8: 923D3D3C
	s_add_u32 s82, s82, s61                                    // 00000000D9BC: 80523D52
	v_mul_lo_u32 v7, v4, s82                                   // 00000000D9C0: D2850007 0000A504
	v_add_u32_e32 v59, v6, v7                                  // 00000000D9C8: 68760F06
	v_and_b32_e32 v4, 31, v0                                   // 00000000D9CC: 2608009F
	v_lshrrev_b32_e32 v4, 1, v4                                // 00000000D9D0: 20080881
	s_cmp_eq_u32 s88, 0                                        // 00000000D9D4: BF068058
	s_cselect_b32 s61, 2, 4                                    // 00000000D9D8: 853D8482
	v_mul_lo_u32 v4, v4, s61                                   // 00000000D9DC: D2850004 00007B04
	v_and_b32_e64 v5, v0, 1                                    // 00000000D9E4: D1130005 00010300
	v_add_u32_e32 v4, v4, v5                                   // 00000000D9EC: 68080B04
	v_lshlrev_b32_e32 v4, 2, v4                                // 00000000D9F0: 24080882
	v_add_u32_e32 v50, v50, v4                                 // 00000000D9F4: 68640932
	v_add_u32_e32 v51, v51, v4                                 // 00000000D9F8: 68660933
	v_add_u32_e32 v52, v52, v4                                 // 00000000D9FC: 68680934
	v_add_u32_e32 v53, v53, v4                                 // 00000000DA00: 686A0935
	v_add_u32_e32 v54, v54, v4                                 // 00000000DA04: 686C0936
	v_add_u32_e32 v55, v55, v4                                 // 00000000DA08: 686E0937
	v_add_u32_e32 v56, v56, v4                                 // 00000000DA0C: 68700938
	v_add_u32_e32 v57, v57, v4                                 // 00000000DA10: 68720939
	v_add_u32_e32 v58, v58, v4                                 // 00000000DA14: 6874093A
	v_add_u32_e32 v59, v59, v4                                 // 00000000DA18: 6876093B
	s_waitcnt lgkmcnt(0)                                       // 00000000DA1C: BF8CC07F
	s_barrier                                                  // 00000000DA20: BF8A0000
	ds_read_b32 v64, v21                                       // 00000000DA24: D86C0000 40000015
	ds_read_b32 v65, v21 offset:64                             // 00000000DA2C: D86C0040 41000015
	ds_read_b32 v68, v21 offset:2176                           // 00000000DA34: D86C0880 44000015
	ds_read_b32 v69, v21 offset:2240                           // 00000000DA3C: D86C08C0 45000015
	ds_read_b32 v72, v21 offset:4352                           // 00000000DA44: D86C1100 48000015
	ds_read_b32 v73, v21 offset:4416                           // 00000000DA4C: D86C1140 49000015
	ds_read_b32 v76, v21 offset:6528                           // 00000000DA54: D86C1980 4C000015
	ds_read_b32 v77, v21 offset:6592                           // 00000000DA5C: D86C19C0 4D000015
	ds_read_b32 v80, v21 offset:8704                           // 00000000DA64: D86C2200 50000015
	ds_read_b32 v81, v21 offset:8768                           // 00000000DA6C: D86C2240 51000015
	ds_read_b32 v84, v21 offset:10880                          // 00000000DA74: D86C2A80 54000015
	ds_read_b32 v85, v21 offset:10944                          // 00000000DA7C: D86C2AC0 55000015
	ds_read_b32 v88, v21 offset:13056                          // 00000000DA84: D86C3300 58000015
	ds_read_b32 v89, v21 offset:13120                          // 00000000DA8C: D86C3340 59000015
	ds_read_b32 v92, v21 offset:15232                          // 00000000DA94: D86C3B80 5C000015
	ds_read_b32 v93, v21 offset:15296                          // 00000000DA9C: D86C3BC0 5D000015
	ds_read_b32 v96, v21 offset:17408                          // 00000000DAA4: D86C4400 60000015
	ds_read_b32 v97, v21 offset:17472                          // 00000000DAAC: D86C4440 61000015
	ds_read_b32 v100, v21 offset:19584                         // 00000000DAB4: D86C4C80 64000015
	ds_read_b32 v101, v21 offset:19648                         // 00000000DABC: D86C4CC0 65000015
	s_waitcnt lgkmcnt(0)                                       // 00000000DAC4: BF8CC07F
	s_mov_b32 s36, -1                                          // 00000000DAC8: BEA400C1
	s_mov_b32 s37, -1                                          // 00000000DACC: BEA500C1
	v_mov_b32_e32 v7, 0                                        // 00000000DAD0: 7E0E0280
	s_mov_b64 exec, s[36:37]                                   // 00000000DAD4: BEFE0124
	v_mov_b32_e32 v6, v50                                      // 00000000DAD8: 7E0C0332
	s_mov_b64 s[60:61], 0                                      // 00000000DADC: BEBC0180
	v_readlane_b32 s82, v3, 0                                  // 00000000DAE0: D2890052 00010103
	s_and_b32 s82, s82, 0xffffff                               // 00000000DAE8: 8652FF52 00FFFFFF
	s_cmp_lt_u32 s82, s66                                      // 00000000DAF0: BF0A4252
	s_cselect_b32 s20, s36, s60                                // 00000000DAF4: 85143C24
	v_readlane_b32 s82, v3, 1                                  // 00000000DAF8: D2890052 00010303
	s_and_b32 s82, s82, 0xffffff                               // 00000000DB00: 8652FF52 00FFFFFF
	s_cmp_lt_u32 s82, s66                                      // 00000000DB08: BF0A4252
	s_cselect_b32 s21, s36, s60                                // 00000000DB0C: 85153C24
	s_mov_b64 exec, s[20:21]                                   // 00000000DB10: BEFE0114
	global_atomic_add_f32 v6, v64, s[8:9]                      // 00000000DB14: DD348000 00084006
	global_atomic_add_f32 v6, v68, s[8:9] offset:256           // 00000000DB1C: DD348100 00084406
	s_mov_b64 exec, s[36:37]                                   // 00000000DB24: BEFE0124
	v_mov_b32_e32 v6, v51                                      // 00000000DB28: 7E0C0333
	s_mov_b64 s[60:61], 0                                      // 00000000DB2C: BEBC0180
	v_readlane_b32 s82, v3, 2                                  // 00000000DB30: D2890052 00010503
	s_and_b32 s82, s82, 0xffffff                               // 00000000DB38: 8652FF52 00FFFFFF
	s_cmp_lt_u32 s82, s66                                      // 00000000DB40: BF0A4252
	s_cselect_b32 s20, s36, s60                                // 00000000DB44: 85143C24
	v_readlane_b32 s82, v3, 3                                  // 00000000DB48: D2890052 00010703
	s_and_b32 s82, s82, 0xffffff                               // 00000000DB50: 8652FF52 00FFFFFF
	s_cmp_lt_u32 s82, s66                                      // 00000000DB58: BF0A4252
	s_cselect_b32 s21, s36, s60                                // 00000000DB5C: 85153C24
	s_mov_b64 exec, s[20:21]                                   // 00000000DB60: BEFE0114
	global_atomic_add_f32 v6, v65, s[8:9]                      // 00000000DB64: DD348000 00084106
	global_atomic_add_f32 v6, v69, s[8:9] offset:256           // 00000000DB6C: DD348100 00084506
	s_mov_b64 exec, s[36:37]                                   // 00000000DB74: BEFE0124
	v_mov_b32_e32 v6, v52                                      // 00000000DB78: 7E0C0334
	s_mov_b64 s[60:61], 0                                      // 00000000DB7C: BEBC0180
	v_readlane_b32 s82, v3, 4                                  // 00000000DB80: D2890052 00010903
	s_and_b32 s82, s82, 0xffffff                               // 00000000DB88: 8652FF52 00FFFFFF
	s_cmp_lt_u32 s82, s66                                      // 00000000DB90: BF0A4252
	s_cselect_b32 s20, s36, s60                                // 00000000DB94: 85143C24
	v_readlane_b32 s82, v3, 5                                  // 00000000DB98: D2890052 00010B03
	s_and_b32 s82, s82, 0xffffff                               // 00000000DBA0: 8652FF52 00FFFFFF
	s_cmp_lt_u32 s82, s66                                      // 00000000DBA8: BF0A4252
	s_cselect_b32 s21, s36, s60                                // 00000000DBAC: 85153C24
	s_mov_b64 exec, s[20:21]                                   // 00000000DBB0: BEFE0114
	global_atomic_add_f32 v6, v72, s[8:9]                      // 00000000DBB4: DD348000 00084806
	global_atomic_add_f32 v6, v76, s[8:9] offset:256           // 00000000DBBC: DD348100 00084C06
	s_mov_b64 exec, s[36:37]                                   // 00000000DBC4: BEFE0124
	v_mov_b32_e32 v6, v53                                      // 00000000DBC8: 7E0C0335
	s_mov_b64 s[60:61], 0                                      // 00000000DBCC: BEBC0180
	v_readlane_b32 s82, v3, 6                                  // 00000000DBD0: D2890052 00010D03
	s_and_b32 s82, s82, 0xffffff                               // 00000000DBD8: 8652FF52 00FFFFFF
	s_cmp_lt_u32 s82, s66                                      // 00000000DBE0: BF0A4252
	s_cselect_b32 s20, s36, s60                                // 00000000DBE4: 85143C24
	v_readlane_b32 s82, v3, 7                                  // 00000000DBE8: D2890052 00010F03
	s_and_b32 s82, s82, 0xffffff                               // 00000000DBF0: 8652FF52 00FFFFFF
	s_cmp_lt_u32 s82, s66                                      // 00000000DBF8: BF0A4252
	s_cselect_b32 s21, s36, s60                                // 00000000DBFC: 85153C24
	s_mov_b64 exec, s[20:21]                                   // 00000000DC00: BEFE0114
	global_atomic_add_f32 v6, v73, s[8:9]                      // 00000000DC04: DD348000 00084906
	global_atomic_add_f32 v6, v77, s[8:9] offset:256           // 00000000DC0C: DD348100 00084D06
	s_mov_b64 exec, s[36:37]                                   // 00000000DC14: BEFE0124
	v_mov_b32_e32 v6, v54                                      // 00000000DC18: 7E0C0336
	s_mov_b64 s[60:61], 0                                      // 00000000DC1C: BEBC0180
	v_readlane_b32 s82, v3, 8                                  // 00000000DC20: D2890052 00011103
	s_and_b32 s82, s82, 0xffffff                               // 00000000DC28: 8652FF52 00FFFFFF
	s_cmp_lt_u32 s82, s66                                      // 00000000DC30: BF0A4252
	s_cselect_b32 s20, s36, s60                                // 00000000DC34: 85143C24
	v_readlane_b32 s82, v3, 9                                  // 00000000DC38: D2890052 00011303
	s_and_b32 s82, s82, 0xffffff                               // 00000000DC40: 8652FF52 00FFFFFF
	s_cmp_lt_u32 s82, s66                                      // 00000000DC48: BF0A4252
	s_cselect_b32 s21, s36, s60                                // 00000000DC4C: 85153C24
	s_mov_b64 exec, s[20:21]                                   // 00000000DC50: BEFE0114
	global_atomic_add_f32 v6, v80, s[8:9]                      // 00000000DC54: DD348000 00085006
	global_atomic_add_f32 v6, v84, s[8:9] offset:256           // 00000000DC5C: DD348100 00085406
	s_mov_b64 exec, s[36:37]                                   // 00000000DC64: BEFE0124
	v_mov_b32_e32 v6, v55                                      // 00000000DC68: 7E0C0337
	s_mov_b64 s[60:61], 0                                      // 00000000DC6C: BEBC0180
	v_readlane_b32 s82, v3, 10                                 // 00000000DC70: D2890052 00011503
	s_and_b32 s82, s82, 0xffffff                               // 00000000DC78: 8652FF52 00FFFFFF
	s_cmp_lt_u32 s82, s66                                      // 00000000DC80: BF0A4252
	s_cselect_b32 s20, s36, s60                                // 00000000DC84: 85143C24
	v_readlane_b32 s82, v3, 11                                 // 00000000DC88: D2890052 00011703
	s_and_b32 s82, s82, 0xffffff                               // 00000000DC90: 8652FF52 00FFFFFF
	s_cmp_lt_u32 s82, s66                                      // 00000000DC98: BF0A4252
	s_cselect_b32 s21, s36, s60                                // 00000000DC9C: 85153C24
	s_mov_b64 exec, s[20:21]                                   // 00000000DCA0: BEFE0114
	global_atomic_add_f32 v6, v81, s[8:9]                      // 00000000DCA4: DD348000 00085106
	global_atomic_add_f32 v6, v85, s[8:9] offset:256           // 00000000DCAC: DD348100 00085506
	s_mov_b64 exec, s[36:37]                                   // 00000000DCB4: BEFE0124
	v_mov_b32_e32 v6, v56                                      // 00000000DCB8: 7E0C0338
	s_mov_b64 s[60:61], 0                                      // 00000000DCBC: BEBC0180
	v_readlane_b32 s82, v3, 12                                 // 00000000DCC0: D2890052 00011903
	s_and_b32 s82, s82, 0xffffff                               // 00000000DCC8: 8652FF52 00FFFFFF
	s_cmp_lt_u32 s82, s66                                      // 00000000DCD0: BF0A4252
	s_cselect_b32 s20, s36, s60                                // 00000000DCD4: 85143C24
	v_readlane_b32 s82, v3, 13                                 // 00000000DCD8: D2890052 00011B03
	s_and_b32 s82, s82, 0xffffff                               // 00000000DCE0: 8652FF52 00FFFFFF
	s_cmp_lt_u32 s82, s66                                      // 00000000DCE8: BF0A4252
	s_cselect_b32 s21, s36, s60                                // 00000000DCEC: 85153C24
	s_mov_b64 exec, s[20:21]                                   // 00000000DCF0: BEFE0114
	global_atomic_add_f32 v6, v88, s[8:9]                      // 00000000DCF4: DD348000 00085806
	global_atomic_add_f32 v6, v92, s[8:9] offset:256           // 00000000DCFC: DD348100 00085C06
	s_mov_b64 exec, s[36:37]                                   // 00000000DD04: BEFE0124
	v_mov_b32_e32 v6, v57                                      // 00000000DD08: 7E0C0339
	s_mov_b64 s[60:61], 0                                      // 00000000DD0C: BEBC0180
	v_readlane_b32 s82, v3, 14                                 // 00000000DD10: D2890052 00011D03
	s_and_b32 s82, s82, 0xffffff                               // 00000000DD18: 8652FF52 00FFFFFF
	s_cmp_lt_u32 s82, s66                                      // 00000000DD20: BF0A4252
	s_cselect_b32 s20, s36, s60                                // 00000000DD24: 85143C24
	v_readlane_b32 s82, v3, 15                                 // 00000000DD28: D2890052 00011F03
	s_and_b32 s82, s82, 0xffffff                               // 00000000DD30: 8652FF52 00FFFFFF
	s_cmp_lt_u32 s82, s66                                      // 00000000DD38: BF0A4252
	s_cselect_b32 s21, s36, s60                                // 00000000DD3C: 85153C24
	s_mov_b64 exec, s[20:21]                                   // 00000000DD40: BEFE0114
	global_atomic_add_f32 v6, v89, s[8:9]                      // 00000000DD44: DD348000 00085906
	global_atomic_add_f32 v6, v93, s[8:9] offset:256           // 00000000DD4C: DD348100 00085D06
	s_mov_b64 exec, s[36:37]                                   // 00000000DD54: BEFE0124
	v_mov_b32_e32 v6, v58                                      // 00000000DD58: 7E0C033A
	s_mov_b64 s[60:61], 0                                      // 00000000DD5C: BEBC0180
	v_readlane_b32 s82, v3, 16                                 // 00000000DD60: D2890052 00012103
	s_and_b32 s82, s82, 0xffffff                               // 00000000DD68: 8652FF52 00FFFFFF
	s_cmp_lt_u32 s82, s66                                      // 00000000DD70: BF0A4252
	s_cselect_b32 s20, s36, s60                                // 00000000DD74: 85143C24
	v_readlane_b32 s82, v3, 17                                 // 00000000DD78: D2890052 00012303
	s_and_b32 s82, s82, 0xffffff                               // 00000000DD80: 8652FF52 00FFFFFF
	s_cmp_lt_u32 s82, s66                                      // 00000000DD88: BF0A4252
	s_cselect_b32 s21, s36, s60                                // 00000000DD8C: 85153C24
	s_mov_b64 exec, s[20:21]                                   // 00000000DD90: BEFE0114
	global_atomic_add_f32 v6, v96, s[8:9]                      // 00000000DD94: DD348000 00086006
	global_atomic_add_f32 v6, v100, s[8:9] offset:256          // 00000000DD9C: DD348100 00086406
	s_mov_b64 exec, s[36:37]                                   // 00000000DDA4: BEFE0124
	v_mov_b32_e32 v6, v59                                      // 00000000DDA8: 7E0C033B
	s_mov_b64 s[60:61], 0                                      // 00000000DDAC: BEBC0180
	v_readlane_b32 s82, v3, 18                                 // 00000000DDB0: D2890052 00012503
	s_and_b32 s82, s82, 0xffffff                               // 00000000DDB8: 8652FF52 00FFFFFF
	s_cmp_lt_u32 s82, s66                                      // 00000000DDC0: BF0A4252
	s_cselect_b32 s20, s36, s60                                // 00000000DDC4: 85143C24
	v_readlane_b32 s82, v3, 19                                 // 00000000DDC8: D2890052 00012703
	s_and_b32 s82, s82, 0xffffff                               // 00000000DDD0: 8652FF52 00FFFFFF
	s_cmp_lt_u32 s82, s66                                      // 00000000DDD8: BF0A4252
	s_cselect_b32 s21, s36, s60                                // 00000000DDDC: 85153C24
	s_mov_b64 exec, s[20:21]                                   // 00000000DDE0: BEFE0114
	global_atomic_add_f32 v6, v97, s[8:9]                      // 00000000DDE4: DD348000 00086106
	global_atomic_add_f32 v6, v101, s[8:9] offset:256          // 00000000DDEC: DD348100 00086506
	s_mov_b64 exec, s[36:37]                                   // 00000000DDF4: BEFE0124
	ds_write_b64 v20, v[66:67]                                 // 00000000DDF8: D89A0000 00004214
	ds_write_b64 v20, v[70:71] offset:4352                     // 00000000DE00: D89A1100 00004614
	ds_write_b64 v20, v[74:75] offset:8704                     // 00000000DE08: D89A2200 00004A14
	ds_write_b64 v20, v[78:79] offset:13056                    // 00000000DE10: D89A3300 00004E14
	ds_write_b64 v20, v[82:83] offset:17408                    // 00000000DE18: D89A4400 00005214
	ds_write_b64 v20, v[86:87] offset:2176                     // 00000000DE20: D89A0880 00005614
	ds_write_b64 v20, v[90:91] offset:6528                     // 00000000DE28: D89A1980 00005A14
	ds_write_b64 v20, v[94:95] offset:10880                    // 00000000DE30: D89A2A80 00005E14
	ds_write_b64 v20, v[98:99] offset:15232                    // 00000000DE38: D89A3B80 00006214
	ds_write_b64 v20, v[102:103] offset:19584                  // 00000000DE40: D89A4C80 00006614
	s_waitcnt lgkmcnt(0)                                       // 00000000DE48: BF8CC07F
	s_barrier                                                  // 00000000DE4C: BF8A0000
	ds_read_b32 v66, v21                                       // 00000000DE50: D86C0000 42000015
	ds_read_b32 v67, v21 offset:64                             // 00000000DE58: D86C0040 43000015
	ds_read_b32 v70, v21 offset:2176                           // 00000000DE60: D86C0880 46000015
	ds_read_b32 v71, v21 offset:2240                           // 00000000DE68: D86C08C0 47000015
	ds_read_b32 v74, v21 offset:4352                           // 00000000DE70: D86C1100 4A000015
	ds_read_b32 v75, v21 offset:4416                           // 00000000DE78: D86C1140 4B000015
	ds_read_b32 v78, v21 offset:6528                           // 00000000DE80: D86C1980 4E000015
	ds_read_b32 v79, v21 offset:6592                           // 00000000DE88: D86C19C0 4F000015
	ds_read_b32 v82, v21 offset:8704                           // 00000000DE90: D86C2200 52000015
	ds_read_b32 v83, v21 offset:8768                           // 00000000DE98: D86C2240 53000015
	ds_read_b32 v86, v21 offset:10880                          // 00000000DEA0: D86C2A80 56000015
	ds_read_b32 v87, v21 offset:10944                          // 00000000DEA8: D86C2AC0 57000015
	ds_read_b32 v90, v21 offset:13056                          // 00000000DEB0: D86C3300 5A000015
	ds_read_b32 v91, v21 offset:13120                          // 00000000DEB8: D86C3340 5B000015
	ds_read_b32 v94, v21 offset:15232                          // 00000000DEC0: D86C3B80 5E000015
	ds_read_b32 v95, v21 offset:15296                          // 00000000DEC8: D86C3BC0 5F000015
	ds_read_b32 v98, v21 offset:17408                          // 00000000DED0: D86C4400 62000015
	ds_read_b32 v99, v21 offset:17472                          // 00000000DED8: D86C4440 63000015
	ds_read_b32 v102, v21 offset:19584                         // 00000000DEE0: D86C4C80 66000015
	ds_read_b32 v103, v21 offset:19648                         // 00000000DEE8: D86C4CC0 67000015
	s_waitcnt lgkmcnt(0)                                       // 00000000DEF0: BF8CC07F
	v_mov_b32_e32 v7, 0                                        // 00000000DEF4: 7E0E0280
	s_mov_b64 exec, s[36:37]                                   // 00000000DEF8: BEFE0124
	v_mov_b32_e32 v6, v50                                      // 00000000DEFC: 7E0C0332
	s_mov_b64 s[60:61], 0                                      // 00000000DF00: BEBC0180
	v_readlane_b32 s82, v3, 0                                  // 00000000DF04: D2890052 00010103
	s_and_b32 s82, s82, 0xffffff                               // 00000000DF0C: 8652FF52 00FFFFFF
	s_cmp_lt_u32 s82, s66                                      // 00000000DF14: BF0A4252
	s_cselect_b32 s20, s36, s60                                // 00000000DF18: 85143C24
	v_readlane_b32 s82, v3, 1                                  // 00000000DF1C: D2890052 00010303
	s_and_b32 s82, s82, 0xffffff                               // 00000000DF24: 8652FF52 00FFFFFF
	s_cmp_lt_u32 s82, s66                                      // 00000000DF2C: BF0A4252
	s_cselect_b32 s21, s36, s60                                // 00000000DF30: 85153C24
	s_mov_b64 exec, s[20:21]                                   // 00000000DF34: BEFE0114
	global_atomic_add_f32 v6, v66, s[8:9] offset:8             // 00000000DF38: DD348008 00084206
	global_atomic_add_f32 v6, v70, s[8:9] offset:264           // 00000000DF40: DD348108 00084606
	s_mov_b64 exec, s[36:37]                                   // 00000000DF48: BEFE0124
	v_mov_b32_e32 v6, v51                                      // 00000000DF4C: 7E0C0333
	s_mov_b64 s[60:61], 0                                      // 00000000DF50: BEBC0180
	v_readlane_b32 s82, v3, 2                                  // 00000000DF54: D2890052 00010503
	s_and_b32 s82, s82, 0xffffff                               // 00000000DF5C: 8652FF52 00FFFFFF
	s_cmp_lt_u32 s82, s66                                      // 00000000DF64: BF0A4252
	s_cselect_b32 s20, s36, s60                                // 00000000DF68: 85143C24
	v_readlane_b32 s82, v3, 3                                  // 00000000DF6C: D2890052 00010703
	s_and_b32 s82, s82, 0xffffff                               // 00000000DF74: 8652FF52 00FFFFFF
	s_cmp_lt_u32 s82, s66                                      // 00000000DF7C: BF0A4252
	s_cselect_b32 s21, s36, s60                                // 00000000DF80: 85153C24
	s_mov_b64 exec, s[20:21]                                   // 00000000DF84: BEFE0114
	global_atomic_add_f32 v6, v67, s[8:9] offset:8             // 00000000DF88: DD348008 00084306
	global_atomic_add_f32 v6, v71, s[8:9] offset:264           // 00000000DF90: DD348108 00084706
	s_mov_b64 exec, s[36:37]                                   // 00000000DF98: BEFE0124
	v_mov_b32_e32 v6, v52                                      // 00000000DF9C: 7E0C0334
	s_mov_b64 s[60:61], 0                                      // 00000000DFA0: BEBC0180
	v_readlane_b32 s82, v3, 4                                  // 00000000DFA4: D2890052 00010903
	s_and_b32 s82, s82, 0xffffff                               // 00000000DFAC: 8652FF52 00FFFFFF
	s_cmp_lt_u32 s82, s66                                      // 00000000DFB4: BF0A4252
	s_cselect_b32 s20, s36, s60                                // 00000000DFB8: 85143C24
	v_readlane_b32 s82, v3, 5                                  // 00000000DFBC: D2890052 00010B03
	s_and_b32 s82, s82, 0xffffff                               // 00000000DFC4: 8652FF52 00FFFFFF
	s_cmp_lt_u32 s82, s66                                      // 00000000DFCC: BF0A4252
	s_cselect_b32 s21, s36, s60                                // 00000000DFD0: 85153C24
	s_mov_b64 exec, s[20:21]                                   // 00000000DFD4: BEFE0114
	global_atomic_add_f32 v6, v74, s[8:9] offset:8             // 00000000DFD8: DD348008 00084A06
	global_atomic_add_f32 v6, v78, s[8:9] offset:264           // 00000000DFE0: DD348108 00084E06
	s_mov_b64 exec, s[36:37]                                   // 00000000DFE8: BEFE0124
	v_mov_b32_e32 v6, v53                                      // 00000000DFEC: 7E0C0335
	s_mov_b64 s[60:61], 0                                      // 00000000DFF0: BEBC0180
	v_readlane_b32 s82, v3, 6                                  // 00000000DFF4: D2890052 00010D03
	s_and_b32 s82, s82, 0xffffff                               // 00000000DFFC: 8652FF52 00FFFFFF
	s_cmp_lt_u32 s82, s66                                      // 00000000E004: BF0A4252
	s_cselect_b32 s20, s36, s60                                // 00000000E008: 85143C24
	v_readlane_b32 s82, v3, 7                                  // 00000000E00C: D2890052 00010F03
	s_and_b32 s82, s82, 0xffffff                               // 00000000E014: 8652FF52 00FFFFFF
	s_cmp_lt_u32 s82, s66                                      // 00000000E01C: BF0A4252
	s_cselect_b32 s21, s36, s60                                // 00000000E020: 85153C24
	s_mov_b64 exec, s[20:21]                                   // 00000000E024: BEFE0114
	global_atomic_add_f32 v6, v75, s[8:9] offset:8             // 00000000E028: DD348008 00084B06
	global_atomic_add_f32 v6, v79, s[8:9] offset:264           // 00000000E030: DD348108 00084F06
	s_mov_b64 exec, s[36:37]                                   // 00000000E038: BEFE0124
	v_mov_b32_e32 v6, v54                                      // 00000000E03C: 7E0C0336
	s_mov_b64 s[60:61], 0                                      // 00000000E040: BEBC0180
	v_readlane_b32 s82, v3, 8                                  // 00000000E044: D2890052 00011103
	s_and_b32 s82, s82, 0xffffff                               // 00000000E04C: 8652FF52 00FFFFFF
	s_cmp_lt_u32 s82, s66                                      // 00000000E054: BF0A4252
	s_cselect_b32 s20, s36, s60                                // 00000000E058: 85143C24
	v_readlane_b32 s82, v3, 9                                  // 00000000E05C: D2890052 00011303
	s_and_b32 s82, s82, 0xffffff                               // 00000000E064: 8652FF52 00FFFFFF
	s_cmp_lt_u32 s82, s66                                      // 00000000E06C: BF0A4252
	s_cselect_b32 s21, s36, s60                                // 00000000E070: 85153C24
	s_mov_b64 exec, s[20:21]                                   // 00000000E074: BEFE0114
	global_atomic_add_f32 v6, v82, s[8:9] offset:8             // 00000000E078: DD348008 00085206
	global_atomic_add_f32 v6, v86, s[8:9] offset:264           // 00000000E080: DD348108 00085606
	s_mov_b64 exec, s[36:37]                                   // 00000000E088: BEFE0124
	v_mov_b32_e32 v6, v55                                      // 00000000E08C: 7E0C0337
	s_mov_b64 s[60:61], 0                                      // 00000000E090: BEBC0180
	v_readlane_b32 s82, v3, 10                                 // 00000000E094: D2890052 00011503
	s_and_b32 s82, s82, 0xffffff                               // 00000000E09C: 8652FF52 00FFFFFF
	s_cmp_lt_u32 s82, s66                                      // 00000000E0A4: BF0A4252
	s_cselect_b32 s20, s36, s60                                // 00000000E0A8: 85143C24
	v_readlane_b32 s82, v3, 11                                 // 00000000E0AC: D2890052 00011703
	s_and_b32 s82, s82, 0xffffff                               // 00000000E0B4: 8652FF52 00FFFFFF
	s_cmp_lt_u32 s82, s66                                      // 00000000E0BC: BF0A4252
	s_cselect_b32 s21, s36, s60                                // 00000000E0C0: 85153C24
	s_mov_b64 exec, s[20:21]                                   // 00000000E0C4: BEFE0114
	global_atomic_add_f32 v6, v83, s[8:9] offset:8             // 00000000E0C8: DD348008 00085306
	global_atomic_add_f32 v6, v87, s[8:9] offset:264           // 00000000E0D0: DD348108 00085706
	s_mov_b64 exec, s[36:37]                                   // 00000000E0D8: BEFE0124
	v_mov_b32_e32 v6, v56                                      // 00000000E0DC: 7E0C0338
	s_mov_b64 s[60:61], 0                                      // 00000000E0E0: BEBC0180
	v_readlane_b32 s82, v3, 12                                 // 00000000E0E4: D2890052 00011903
	s_and_b32 s82, s82, 0xffffff                               // 00000000E0EC: 8652FF52 00FFFFFF
	s_cmp_lt_u32 s82, s66                                      // 00000000E0F4: BF0A4252
	s_cselect_b32 s20, s36, s60                                // 00000000E0F8: 85143C24
	v_readlane_b32 s82, v3, 13                                 // 00000000E0FC: D2890052 00011B03
	s_and_b32 s82, s82, 0xffffff                               // 00000000E104: 8652FF52 00FFFFFF
	s_cmp_lt_u32 s82, s66                                      // 00000000E10C: BF0A4252
	s_cselect_b32 s21, s36, s60                                // 00000000E110: 85153C24
	s_mov_b64 exec, s[20:21]                                   // 00000000E114: BEFE0114
	global_atomic_add_f32 v6, v90, s[8:9] offset:8             // 00000000E118: DD348008 00085A06
	global_atomic_add_f32 v6, v94, s[8:9] offset:264           // 00000000E120: DD348108 00085E06
	s_mov_b64 exec, s[36:37]                                   // 00000000E128: BEFE0124
	v_mov_b32_e32 v6, v57                                      // 00000000E12C: 7E0C0339
	s_mov_b64 s[60:61], 0                                      // 00000000E130: BEBC0180
	v_readlane_b32 s82, v3, 14                                 // 00000000E134: D2890052 00011D03
	s_and_b32 s82, s82, 0xffffff                               // 00000000E13C: 8652FF52 00FFFFFF
	s_cmp_lt_u32 s82, s66                                      // 00000000E144: BF0A4252
	s_cselect_b32 s20, s36, s60                                // 00000000E148: 85143C24
	v_readlane_b32 s82, v3, 15                                 // 00000000E14C: D2890052 00011F03
	s_and_b32 s82, s82, 0xffffff                               // 00000000E154: 8652FF52 00FFFFFF
	s_cmp_lt_u32 s82, s66                                      // 00000000E15C: BF0A4252
	s_cselect_b32 s21, s36, s60                                // 00000000E160: 85153C24
	s_mov_b64 exec, s[20:21]                                   // 00000000E164: BEFE0114
	global_atomic_add_f32 v6, v91, s[8:9] offset:8             // 00000000E168: DD348008 00085B06
	global_atomic_add_f32 v6, v95, s[8:9] offset:264           // 00000000E170: DD348108 00085F06
	s_mov_b64 exec, s[36:37]                                   // 00000000E178: BEFE0124
	v_mov_b32_e32 v6, v58                                      // 00000000E17C: 7E0C033A
	s_mov_b64 s[60:61], 0                                      // 00000000E180: BEBC0180
	v_readlane_b32 s82, v3, 16                                 // 00000000E184: D2890052 00012103
	s_and_b32 s82, s82, 0xffffff                               // 00000000E18C: 8652FF52 00FFFFFF
	s_cmp_lt_u32 s82, s66                                      // 00000000E194: BF0A4252
	s_cselect_b32 s20, s36, s60                                // 00000000E198: 85143C24
	v_readlane_b32 s82, v3, 17                                 // 00000000E19C: D2890052 00012303
	s_and_b32 s82, s82, 0xffffff                               // 00000000E1A4: 8652FF52 00FFFFFF
	s_cmp_lt_u32 s82, s66                                      // 00000000E1AC: BF0A4252
	s_cselect_b32 s21, s36, s60                                // 00000000E1B0: 85153C24
	s_mov_b64 exec, s[20:21]                                   // 00000000E1B4: BEFE0114
	global_atomic_add_f32 v6, v98, s[8:9] offset:8             // 00000000E1B8: DD348008 00086206
	global_atomic_add_f32 v6, v102, s[8:9] offset:264          // 00000000E1C0: DD348108 00086606
	s_mov_b64 exec, s[36:37]                                   // 00000000E1C8: BEFE0124
	v_mov_b32_e32 v6, v59                                      // 00000000E1CC: 7E0C033B
	s_mov_b64 s[60:61], 0                                      // 00000000E1D0: BEBC0180
	v_readlane_b32 s82, v3, 18                                 // 00000000E1D4: D2890052 00012503
	s_and_b32 s82, s82, 0xffffff                               // 00000000E1DC: 8652FF52 00FFFFFF
	s_cmp_lt_u32 s82, s66                                      // 00000000E1E4: BF0A4252
	s_cselect_b32 s20, s36, s60                                // 00000000E1E8: 85143C24
	v_readlane_b32 s82, v3, 19                                 // 00000000E1EC: D2890052 00012703
	s_and_b32 s82, s82, 0xffffff                               // 00000000E1F4: 8652FF52 00FFFFFF
	s_cmp_lt_u32 s82, s66                                      // 00000000E1FC: BF0A4252
	s_cselect_b32 s21, s36, s60                                // 00000000E200: 85153C24
	s_mov_b64 exec, s[20:21]                                   // 00000000E204: BEFE0114
	global_atomic_add_f32 v6, v99, s[8:9] offset:8             // 00000000E208: DD348008 00086306
	global_atomic_add_f32 v6, v103, s[8:9] offset:264          // 00000000E210: DD348108 00086706
	s_mov_b64 exec, s[36:37]                                   // 00000000E218: BEFE0124
	ds_write_b64 v20, v[104:105]                               // 00000000E21C: D89A0000 00006814
	ds_write_b64 v20, v[108:109] offset:4352                   // 00000000E224: D89A1100 00006C14
	ds_write_b64 v20, v[112:113] offset:8704                   // 00000000E22C: D89A2200 00007014
	ds_write_b64 v20, v[116:117] offset:13056                  // 00000000E234: D89A3300 00007414
	ds_write_b64 v20, v[120:121] offset:17408                  // 00000000E23C: D89A4400 00007814
	ds_write_b64 v20, v[124:125] offset:2176                   // 00000000E244: D89A0880 00007C14
	ds_write_b64 v20, v[128:129] offset:6528                   // 00000000E24C: D89A1980 00008014
	ds_write_b64 v20, v[132:133] offset:10880                  // 00000000E254: D89A2A80 00008414
	ds_write_b64 v20, v[136:137] offset:15232                  // 00000000E25C: D89A3B80 00008814
	ds_write_b64 v20, v[140:141] offset:19584                  // 00000000E264: D89A4C80 00008C14
	s_waitcnt lgkmcnt(0)                                       // 00000000E26C: BF8CC07F
	s_barrier                                                  // 00000000E270: BF8A0000
	ds_read_b32 v104, v21                                      // 00000000E274: D86C0000 68000015
	ds_read_b32 v105, v21 offset:64                            // 00000000E27C: D86C0040 69000015
	ds_read_b32 v108, v21 offset:2176                          // 00000000E284: D86C0880 6C000015
	ds_read_b32 v109, v21 offset:2240                          // 00000000E28C: D86C08C0 6D000015
	ds_read_b32 v112, v21 offset:4352                          // 00000000E294: D86C1100 70000015
	ds_read_b32 v113, v21 offset:4416                          // 00000000E29C: D86C1140 71000015
	ds_read_b32 v116, v21 offset:6528                          // 00000000E2A4: D86C1980 74000015
	ds_read_b32 v117, v21 offset:6592                          // 00000000E2AC: D86C19C0 75000015
	ds_read_b32 v120, v21 offset:8704                          // 00000000E2B4: D86C2200 78000015
	ds_read_b32 v121, v21 offset:8768                          // 00000000E2BC: D86C2240 79000015
	ds_read_b32 v124, v21 offset:10880                         // 00000000E2C4: D86C2A80 7C000015
	ds_read_b32 v125, v21 offset:10944                         // 00000000E2CC: D86C2AC0 7D000015
	ds_read_b32 v128, v21 offset:13056                         // 00000000E2D4: D86C3300 80000015
	ds_read_b32 v129, v21 offset:13120                         // 00000000E2DC: D86C3340 81000015
	ds_read_b32 v132, v21 offset:15232                         // 00000000E2E4: D86C3B80 84000015
	ds_read_b32 v133, v21 offset:15296                         // 00000000E2EC: D86C3BC0 85000015
	ds_read_b32 v136, v21 offset:17408                         // 00000000E2F4: D86C4400 88000015
	ds_read_b32 v137, v21 offset:17472                         // 00000000E2FC: D86C4440 89000015
	ds_read_b32 v140, v21 offset:19584                         // 00000000E304: D86C4C80 8C000015
	ds_read_b32 v141, v21 offset:19648                         // 00000000E30C: D86C4CC0 8D000015
	s_mul_i32 s60, s65, 4                                      // 00000000E314: 923C8441
	s_add_u32 s8, s60, s8                                      // 00000000E318: 8008083C
	s_addc_u32 s9, 0, s9                                       // 00000000E31C: 82090980
	s_waitcnt lgkmcnt(0)                                       // 00000000E320: BF8CC07F
	v_mov_b32_e32 v7, 0                                        // 00000000E324: 7E0E0280
	s_mov_b64 exec, s[36:37]                                   // 00000000E328: BEFE0124
	v_mov_b32_e32 v6, v50                                      // 00000000E32C: 7E0C0332
	s_mov_b64 s[60:61], 0                                      // 00000000E330: BEBC0180
	v_readlane_b32 s82, v3, 0                                  // 00000000E334: D2890052 00010103
	s_and_b32 s82, s82, 0xffffff                               // 00000000E33C: 8652FF52 00FFFFFF
	s_cmp_lt_u32 s82, s66                                      // 00000000E344: BF0A4252
	s_cselect_b32 s20, s36, s60                                // 00000000E348: 85143C24
	v_readlane_b32 s82, v3, 1                                  // 00000000E34C: D2890052 00010303
	s_and_b32 s82, s82, 0xffffff                               // 00000000E354: 8652FF52 00FFFFFF
	s_cmp_lt_u32 s82, s66                                      // 00000000E35C: BF0A4252
	s_cselect_b32 s21, s36, s60                                // 00000000E360: 85153C24
	s_mov_b64 exec, s[20:21]                                   // 00000000E364: BEFE0114
	global_atomic_add_f32 v6, v104, s[8:9]                     // 00000000E368: DD348000 00086806
	global_atomic_add_f32 v6, v108, s[8:9] offset:256          // 00000000E370: DD348100 00086C06
	s_mov_b64 exec, s[36:37]                                   // 00000000E378: BEFE0124
	v_mov_b32_e32 v6, v51                                      // 00000000E37C: 7E0C0333
	s_mov_b64 s[60:61], 0                                      // 00000000E380: BEBC0180
	v_readlane_b32 s82, v3, 2                                  // 00000000E384: D2890052 00010503
	s_and_b32 s82, s82, 0xffffff                               // 00000000E38C: 8652FF52 00FFFFFF
	s_cmp_lt_u32 s82, s66                                      // 00000000E394: BF0A4252
	s_cselect_b32 s20, s36, s60                                // 00000000E398: 85143C24
	v_readlane_b32 s82, v3, 3                                  // 00000000E39C: D2890052 00010703
	s_and_b32 s82, s82, 0xffffff                               // 00000000E3A4: 8652FF52 00FFFFFF
	s_cmp_lt_u32 s82, s66                                      // 00000000E3AC: BF0A4252
	s_cselect_b32 s21, s36, s60                                // 00000000E3B0: 85153C24
	s_mov_b64 exec, s[20:21]                                   // 00000000E3B4: BEFE0114
	global_atomic_add_f32 v6, v105, s[8:9]                     // 00000000E3B8: DD348000 00086906
	global_atomic_add_f32 v6, v109, s[8:9] offset:256          // 00000000E3C0: DD348100 00086D06
	s_mov_b64 exec, s[36:37]                                   // 00000000E3C8: BEFE0124
	v_mov_b32_e32 v6, v52                                      // 00000000E3CC: 7E0C0334
	s_mov_b64 s[60:61], 0                                      // 00000000E3D0: BEBC0180
	v_readlane_b32 s82, v3, 4                                  // 00000000E3D4: D2890052 00010903
	s_and_b32 s82, s82, 0xffffff                               // 00000000E3DC: 8652FF52 00FFFFFF
	s_cmp_lt_u32 s82, s66                                      // 00000000E3E4: BF0A4252
	s_cselect_b32 s20, s36, s60                                // 00000000E3E8: 85143C24
	v_readlane_b32 s82, v3, 5                                  // 00000000E3EC: D2890052 00010B03
	s_and_b32 s82, s82, 0xffffff                               // 00000000E3F4: 8652FF52 00FFFFFF
	s_cmp_lt_u32 s82, s66                                      // 00000000E3FC: BF0A4252
	s_cselect_b32 s21, s36, s60                                // 00000000E400: 85153C24
	s_mov_b64 exec, s[20:21]                                   // 00000000E404: BEFE0114
	global_atomic_add_f32 v6, v112, s[8:9]                     // 00000000E408: DD348000 00087006
	global_atomic_add_f32 v6, v116, s[8:9] offset:256          // 00000000E410: DD348100 00087406
	s_mov_b64 exec, s[36:37]                                   // 00000000E418: BEFE0124
	v_mov_b32_e32 v6, v53                                      // 00000000E41C: 7E0C0335
	s_mov_b64 s[60:61], 0                                      // 00000000E420: BEBC0180
	v_readlane_b32 s82, v3, 6                                  // 00000000E424: D2890052 00010D03
	s_and_b32 s82, s82, 0xffffff                               // 00000000E42C: 8652FF52 00FFFFFF
	s_cmp_lt_u32 s82, s66                                      // 00000000E434: BF0A4252
	s_cselect_b32 s20, s36, s60                                // 00000000E438: 85143C24
	v_readlane_b32 s82, v3, 7                                  // 00000000E43C: D2890052 00010F03
	s_and_b32 s82, s82, 0xffffff                               // 00000000E444: 8652FF52 00FFFFFF
	s_cmp_lt_u32 s82, s66                                      // 00000000E44C: BF0A4252
	s_cselect_b32 s21, s36, s60                                // 00000000E450: 85153C24
	s_mov_b64 exec, s[20:21]                                   // 00000000E454: BEFE0114
	global_atomic_add_f32 v6, v113, s[8:9]                     // 00000000E458: DD348000 00087106
	global_atomic_add_f32 v6, v117, s[8:9] offset:256          // 00000000E460: DD348100 00087506
	s_mov_b64 exec, s[36:37]                                   // 00000000E468: BEFE0124
	v_mov_b32_e32 v6, v54                                      // 00000000E46C: 7E0C0336
	s_mov_b64 s[60:61], 0                                      // 00000000E470: BEBC0180
	v_readlane_b32 s82, v3, 8                                  // 00000000E474: D2890052 00011103
	s_and_b32 s82, s82, 0xffffff                               // 00000000E47C: 8652FF52 00FFFFFF
	s_cmp_lt_u32 s82, s66                                      // 00000000E484: BF0A4252
	s_cselect_b32 s20, s36, s60                                // 00000000E488: 85143C24
	v_readlane_b32 s82, v3, 9                                  // 00000000E48C: D2890052 00011303
	s_and_b32 s82, s82, 0xffffff                               // 00000000E494: 8652FF52 00FFFFFF
	s_cmp_lt_u32 s82, s66                                      // 00000000E49C: BF0A4252
	s_cselect_b32 s21, s36, s60                                // 00000000E4A0: 85153C24
	s_mov_b64 exec, s[20:21]                                   // 00000000E4A4: BEFE0114
	global_atomic_add_f32 v6, v120, s[8:9]                     // 00000000E4A8: DD348000 00087806
	global_atomic_add_f32 v6, v124, s[8:9] offset:256          // 00000000E4B0: DD348100 00087C06
	s_mov_b64 exec, s[36:37]                                   // 00000000E4B8: BEFE0124
	v_mov_b32_e32 v6, v55                                      // 00000000E4BC: 7E0C0337
	s_mov_b64 s[60:61], 0                                      // 00000000E4C0: BEBC0180
	v_readlane_b32 s82, v3, 10                                 // 00000000E4C4: D2890052 00011503
	s_and_b32 s82, s82, 0xffffff                               // 00000000E4CC: 8652FF52 00FFFFFF
	s_cmp_lt_u32 s82, s66                                      // 00000000E4D4: BF0A4252
	s_cselect_b32 s20, s36, s60                                // 00000000E4D8: 85143C24
	v_readlane_b32 s82, v3, 11                                 // 00000000E4DC: D2890052 00011703
	s_and_b32 s82, s82, 0xffffff                               // 00000000E4E4: 8652FF52 00FFFFFF
	s_cmp_lt_u32 s82, s66                                      // 00000000E4EC: BF0A4252
	s_cselect_b32 s21, s36, s60                                // 00000000E4F0: 85153C24
	s_mov_b64 exec, s[20:21]                                   // 00000000E4F4: BEFE0114
	global_atomic_add_f32 v6, v121, s[8:9]                     // 00000000E4F8: DD348000 00087906
	global_atomic_add_f32 v6, v125, s[8:9] offset:256          // 00000000E500: DD348100 00087D06
	s_mov_b64 exec, s[36:37]                                   // 00000000E508: BEFE0124
	v_mov_b32_e32 v6, v56                                      // 00000000E50C: 7E0C0338
	s_mov_b64 s[60:61], 0                                      // 00000000E510: BEBC0180
	v_readlane_b32 s82, v3, 12                                 // 00000000E514: D2890052 00011903
	s_and_b32 s82, s82, 0xffffff                               // 00000000E51C: 8652FF52 00FFFFFF
	s_cmp_lt_u32 s82, s66                                      // 00000000E524: BF0A4252
	s_cselect_b32 s20, s36, s60                                // 00000000E528: 85143C24
	v_readlane_b32 s82, v3, 13                                 // 00000000E52C: D2890052 00011B03
	s_and_b32 s82, s82, 0xffffff                               // 00000000E534: 8652FF52 00FFFFFF
	s_cmp_lt_u32 s82, s66                                      // 00000000E53C: BF0A4252
	s_cselect_b32 s21, s36, s60                                // 00000000E540: 85153C24
	s_mov_b64 exec, s[20:21]                                   // 00000000E544: BEFE0114
	global_atomic_add_f32 v6, v128, s[8:9]                     // 00000000E548: DD348000 00088006
	global_atomic_add_f32 v6, v132, s[8:9] offset:256          // 00000000E550: DD348100 00088406
	s_mov_b64 exec, s[36:37]                                   // 00000000E558: BEFE0124
	v_mov_b32_e32 v6, v57                                      // 00000000E55C: 7E0C0339
	s_mov_b64 s[60:61], 0                                      // 00000000E560: BEBC0180
	v_readlane_b32 s82, v3, 14                                 // 00000000E564: D2890052 00011D03
	s_and_b32 s82, s82, 0xffffff                               // 00000000E56C: 8652FF52 00FFFFFF
	s_cmp_lt_u32 s82, s66                                      // 00000000E574: BF0A4252
	s_cselect_b32 s20, s36, s60                                // 00000000E578: 85143C24
	v_readlane_b32 s82, v3, 15                                 // 00000000E57C: D2890052 00011F03
	s_and_b32 s82, s82, 0xffffff                               // 00000000E584: 8652FF52 00FFFFFF
	s_cmp_lt_u32 s82, s66                                      // 00000000E58C: BF0A4252
	s_cselect_b32 s21, s36, s60                                // 00000000E590: 85153C24
	s_mov_b64 exec, s[20:21]                                   // 00000000E594: BEFE0114
	global_atomic_add_f32 v6, v129, s[8:9]                     // 00000000E598: DD348000 00088106
	global_atomic_add_f32 v6, v133, s[8:9] offset:256          // 00000000E5A0: DD348100 00088506
	s_mov_b64 exec, s[36:37]                                   // 00000000E5A8: BEFE0124
	v_mov_b32_e32 v6, v58                                      // 00000000E5AC: 7E0C033A
	s_mov_b64 s[60:61], 0                                      // 00000000E5B0: BEBC0180
	v_readlane_b32 s82, v3, 16                                 // 00000000E5B4: D2890052 00012103
	s_and_b32 s82, s82, 0xffffff                               // 00000000E5BC: 8652FF52 00FFFFFF
	s_cmp_lt_u32 s82, s66                                      // 00000000E5C4: BF0A4252
	s_cselect_b32 s20, s36, s60                                // 00000000E5C8: 85143C24
	v_readlane_b32 s82, v3, 17                                 // 00000000E5CC: D2890052 00012303
	s_and_b32 s82, s82, 0xffffff                               // 00000000E5D4: 8652FF52 00FFFFFF
	s_cmp_lt_u32 s82, s66                                      // 00000000E5DC: BF0A4252
	s_cselect_b32 s21, s36, s60                                // 00000000E5E0: 85153C24
	s_mov_b64 exec, s[20:21]                                   // 00000000E5E4: BEFE0114
	global_atomic_add_f32 v6, v136, s[8:9]                     // 00000000E5E8: DD348000 00088806
	global_atomic_add_f32 v6, v140, s[8:9] offset:256          // 00000000E5F0: DD348100 00088C06
	s_mov_b64 exec, s[36:37]                                   // 00000000E5F8: BEFE0124
	v_mov_b32_e32 v6, v59                                      // 00000000E5FC: 7E0C033B
	s_mov_b64 s[60:61], 0                                      // 00000000E600: BEBC0180
	v_readlane_b32 s82, v3, 18                                 // 00000000E604: D2890052 00012503
	s_and_b32 s82, s82, 0xffffff                               // 00000000E60C: 8652FF52 00FFFFFF
	s_cmp_lt_u32 s82, s66                                      // 00000000E614: BF0A4252
	s_cselect_b32 s20, s36, s60                                // 00000000E618: 85143C24
	v_readlane_b32 s82, v3, 19                                 // 00000000E61C: D2890052 00012703
	s_and_b32 s82, s82, 0xffffff                               // 00000000E624: 8652FF52 00FFFFFF
	s_cmp_lt_u32 s82, s66                                      // 00000000E62C: BF0A4252
	s_cselect_b32 s21, s36, s60                                // 00000000E630: 85153C24
	s_mov_b64 exec, s[20:21]                                   // 00000000E634: BEFE0114
	global_atomic_add_f32 v6, v137, s[8:9]                     // 00000000E638: DD348000 00088906
	global_atomic_add_f32 v6, v141, s[8:9] offset:256          // 00000000E640: DD348100 00088D06
	s_mov_b64 exec, s[36:37]                                   // 00000000E648: BEFE0124
	ds_write_b64 v20, v[106:107]                               // 00000000E64C: D89A0000 00006A14
	ds_write_b64 v20, v[110:111] offset:4352                   // 00000000E654: D89A1100 00006E14
	ds_write_b64 v20, v[114:115] offset:8704                   // 00000000E65C: D89A2200 00007214
	ds_write_b64 v20, v[118:119] offset:13056                  // 00000000E664: D89A3300 00007614
	ds_write_b64 v20, v[122:123] offset:17408                  // 00000000E66C: D89A4400 00007A14
	ds_write_b64 v20, v[126:127] offset:2176                   // 00000000E674: D89A0880 00007E14
	ds_write_b64 v20, v[130:131] offset:6528                   // 00000000E67C: D89A1980 00008214
	ds_write_b64 v20, v[134:135] offset:10880                  // 00000000E684: D89A2A80 00008614
	ds_write_b64 v20, v[138:139] offset:15232                  // 00000000E68C: D89A3B80 00008A14
	ds_write_b64 v20, v[142:143] offset:19584                  // 00000000E694: D89A4C80 00008E14
	s_waitcnt lgkmcnt(0)                                       // 00000000E69C: BF8CC07F
	s_barrier                                                  // 00000000E6A0: BF8A0000
	ds_read_b32 v106, v21                                      // 00000000E6A4: D86C0000 6A000015
	ds_read_b32 v107, v21 offset:64                            // 00000000E6AC: D86C0040 6B000015
	ds_read_b32 v110, v21 offset:2176                          // 00000000E6B4: D86C0880 6E000015
	ds_read_b32 v111, v21 offset:2240                          // 00000000E6BC: D86C08C0 6F000015
	ds_read_b32 v114, v21 offset:4352                          // 00000000E6C4: D86C1100 72000015
	ds_read_b32 v115, v21 offset:4416                          // 00000000E6CC: D86C1140 73000015
	ds_read_b32 v118, v21 offset:6528                          // 00000000E6D4: D86C1980 76000015
	ds_read_b32 v119, v21 offset:6592                          // 00000000E6DC: D86C19C0 77000015
	ds_read_b32 v122, v21 offset:8704                          // 00000000E6E4: D86C2200 7A000015
	ds_read_b32 v123, v21 offset:8768                          // 00000000E6EC: D86C2240 7B000015
	ds_read_b32 v126, v21 offset:10880                         // 00000000E6F4: D86C2A80 7E000015
	ds_read_b32 v127, v21 offset:10944                         // 00000000E6FC: D86C2AC0 7F000015
	ds_read_b32 v130, v21 offset:13056                         // 00000000E704: D86C3300 82000015
	ds_read_b32 v131, v21 offset:13120                         // 00000000E70C: D86C3340 83000015
	ds_read_b32 v134, v21 offset:15232                         // 00000000E714: D86C3B80 86000015
	ds_read_b32 v135, v21 offset:15296                         // 00000000E71C: D86C3BC0 87000015
	ds_read_b32 v138, v21 offset:17408                         // 00000000E724: D86C4400 8A000015
	ds_read_b32 v139, v21 offset:17472                         // 00000000E72C: D86C4440 8B000015
	ds_read_b32 v142, v21 offset:19584                         // 00000000E734: D86C4C80 8E000015
	ds_read_b32 v143, v21 offset:19648                         // 00000000E73C: D86C4CC0 8F000015
	s_waitcnt lgkmcnt(0)                                       // 00000000E744: BF8CC07F
	v_mov_b32_e32 v7, 0                                        // 00000000E748: 7E0E0280
	s_mov_b64 exec, s[36:37]                                   // 00000000E74C: BEFE0124
	v_mov_b32_e32 v6, v50                                      // 00000000E750: 7E0C0332
	s_mov_b64 s[60:61], 0                                      // 00000000E754: BEBC0180
	v_readlane_b32 s82, v3, 0                                  // 00000000E758: D2890052 00010103
	s_and_b32 s82, s82, 0xffffff                               // 00000000E760: 8652FF52 00FFFFFF
	s_cmp_lt_u32 s82, s66                                      // 00000000E768: BF0A4252
	s_cselect_b32 s20, s36, s60                                // 00000000E76C: 85143C24
	v_readlane_b32 s82, v3, 1                                  // 00000000E770: D2890052 00010303
	s_and_b32 s82, s82, 0xffffff                               // 00000000E778: 8652FF52 00FFFFFF
	s_cmp_lt_u32 s82, s66                                      // 00000000E780: BF0A4252
	s_cselect_b32 s21, s36, s60                                // 00000000E784: 85153C24
	s_mov_b64 exec, s[20:21]                                   // 00000000E788: BEFE0114
	global_atomic_add_f32 v6, v106, s[8:9] offset:8            // 00000000E78C: DD348008 00086A06
	global_atomic_add_f32 v6, v110, s[8:9] offset:264          // 00000000E794: DD348108 00086E06
	s_mov_b64 exec, s[36:37]                                   // 00000000E79C: BEFE0124
	v_mov_b32_e32 v6, v51                                      // 00000000E7A0: 7E0C0333
	s_mov_b64 s[60:61], 0                                      // 00000000E7A4: BEBC0180
	v_readlane_b32 s82, v3, 2                                  // 00000000E7A8: D2890052 00010503
	s_and_b32 s82, s82, 0xffffff                               // 00000000E7B0: 8652FF52 00FFFFFF
	s_cmp_lt_u32 s82, s66                                      // 00000000E7B8: BF0A4252
	s_cselect_b32 s20, s36, s60                                // 00000000E7BC: 85143C24
	v_readlane_b32 s82, v3, 3                                  // 00000000E7C0: D2890052 00010703
	s_and_b32 s82, s82, 0xffffff                               // 00000000E7C8: 8652FF52 00FFFFFF
	s_cmp_lt_u32 s82, s66                                      // 00000000E7D0: BF0A4252
	s_cselect_b32 s21, s36, s60                                // 00000000E7D4: 85153C24
	s_mov_b64 exec, s[20:21]                                   // 00000000E7D8: BEFE0114
	global_atomic_add_f32 v6, v107, s[8:9] offset:8            // 00000000E7DC: DD348008 00086B06
	global_atomic_add_f32 v6, v111, s[8:9] offset:264          // 00000000E7E4: DD348108 00086F06
	s_mov_b64 exec, s[36:37]                                   // 00000000E7EC: BEFE0124
	v_mov_b32_e32 v6, v52                                      // 00000000E7F0: 7E0C0334
	s_mov_b64 s[60:61], 0                                      // 00000000E7F4: BEBC0180
	v_readlane_b32 s82, v3, 4                                  // 00000000E7F8: D2890052 00010903
	s_and_b32 s82, s82, 0xffffff                               // 00000000E800: 8652FF52 00FFFFFF
	s_cmp_lt_u32 s82, s66                                      // 00000000E808: BF0A4252
	s_cselect_b32 s20, s36, s60                                // 00000000E80C: 85143C24
	v_readlane_b32 s82, v3, 5                                  // 00000000E810: D2890052 00010B03
	s_and_b32 s82, s82, 0xffffff                               // 00000000E818: 8652FF52 00FFFFFF
	s_cmp_lt_u32 s82, s66                                      // 00000000E820: BF0A4252
	s_cselect_b32 s21, s36, s60                                // 00000000E824: 85153C24
	s_mov_b64 exec, s[20:21]                                   // 00000000E828: BEFE0114
	global_atomic_add_f32 v6, v114, s[8:9] offset:8            // 00000000E82C: DD348008 00087206
	global_atomic_add_f32 v6, v118, s[8:9] offset:264          // 00000000E834: DD348108 00087606
	s_mov_b64 exec, s[36:37]                                   // 00000000E83C: BEFE0124
	v_mov_b32_e32 v6, v53                                      // 00000000E840: 7E0C0335
	s_mov_b64 s[60:61], 0                                      // 00000000E844: BEBC0180
	v_readlane_b32 s82, v3, 6                                  // 00000000E848: D2890052 00010D03
	s_and_b32 s82, s82, 0xffffff                               // 00000000E850: 8652FF52 00FFFFFF
	s_cmp_lt_u32 s82, s66                                      // 00000000E858: BF0A4252
	s_cselect_b32 s20, s36, s60                                // 00000000E85C: 85143C24
	v_readlane_b32 s82, v3, 7                                  // 00000000E860: D2890052 00010F03
	s_and_b32 s82, s82, 0xffffff                               // 00000000E868: 8652FF52 00FFFFFF
	s_cmp_lt_u32 s82, s66                                      // 00000000E870: BF0A4252
	s_cselect_b32 s21, s36, s60                                // 00000000E874: 85153C24
	s_mov_b64 exec, s[20:21]                                   // 00000000E878: BEFE0114
	global_atomic_add_f32 v6, v115, s[8:9] offset:8            // 00000000E87C: DD348008 00087306
	global_atomic_add_f32 v6, v119, s[8:9] offset:264          // 00000000E884: DD348108 00087706
	s_mov_b64 exec, s[36:37]                                   // 00000000E88C: BEFE0124
	v_mov_b32_e32 v6, v54                                      // 00000000E890: 7E0C0336
	s_mov_b64 s[60:61], 0                                      // 00000000E894: BEBC0180
	v_readlane_b32 s82, v3, 8                                  // 00000000E898: D2890052 00011103
	s_and_b32 s82, s82, 0xffffff                               // 00000000E8A0: 8652FF52 00FFFFFF
	s_cmp_lt_u32 s82, s66                                      // 00000000E8A8: BF0A4252
	s_cselect_b32 s20, s36, s60                                // 00000000E8AC: 85143C24
	v_readlane_b32 s82, v3, 9                                  // 00000000E8B0: D2890052 00011303
	s_and_b32 s82, s82, 0xffffff                               // 00000000E8B8: 8652FF52 00FFFFFF
	s_cmp_lt_u32 s82, s66                                      // 00000000E8C0: BF0A4252
	s_cselect_b32 s21, s36, s60                                // 00000000E8C4: 85153C24
	s_mov_b64 exec, s[20:21]                                   // 00000000E8C8: BEFE0114
	global_atomic_add_f32 v6, v122, s[8:9] offset:8            // 00000000E8CC: DD348008 00087A06
	global_atomic_add_f32 v6, v126, s[8:9] offset:264          // 00000000E8D4: DD348108 00087E06
	s_mov_b64 exec, s[36:37]                                   // 00000000E8DC: BEFE0124
	v_mov_b32_e32 v6, v55                                      // 00000000E8E0: 7E0C0337
	s_mov_b64 s[60:61], 0                                      // 00000000E8E4: BEBC0180
	v_readlane_b32 s82, v3, 10                                 // 00000000E8E8: D2890052 00011503
	s_and_b32 s82, s82, 0xffffff                               // 00000000E8F0: 8652FF52 00FFFFFF
	s_cmp_lt_u32 s82, s66                                      // 00000000E8F8: BF0A4252
	s_cselect_b32 s20, s36, s60                                // 00000000E8FC: 85143C24
	v_readlane_b32 s82, v3, 11                                 // 00000000E900: D2890052 00011703
	s_and_b32 s82, s82, 0xffffff                               // 00000000E908: 8652FF52 00FFFFFF
	s_cmp_lt_u32 s82, s66                                      // 00000000E910: BF0A4252
	s_cselect_b32 s21, s36, s60                                // 00000000E914: 85153C24
	s_mov_b64 exec, s[20:21]                                   // 00000000E918: BEFE0114
	global_atomic_add_f32 v6, v123, s[8:9] offset:8            // 00000000E91C: DD348008 00087B06
	global_atomic_add_f32 v6, v127, s[8:9] offset:264          // 00000000E924: DD348108 00087F06
	s_mov_b64 exec, s[36:37]                                   // 00000000E92C: BEFE0124
	v_mov_b32_e32 v6, v56                                      // 00000000E930: 7E0C0338
	s_mov_b64 s[60:61], 0                                      // 00000000E934: BEBC0180
	v_readlane_b32 s82, v3, 12                                 // 00000000E938: D2890052 00011903
	s_and_b32 s82, s82, 0xffffff                               // 00000000E940: 8652FF52 00FFFFFF
	s_cmp_lt_u32 s82, s66                                      // 00000000E948: BF0A4252
	s_cselect_b32 s20, s36, s60                                // 00000000E94C: 85143C24
	v_readlane_b32 s82, v3, 13                                 // 00000000E950: D2890052 00011B03
	s_and_b32 s82, s82, 0xffffff                               // 00000000E958: 8652FF52 00FFFFFF
	s_cmp_lt_u32 s82, s66                                      // 00000000E960: BF0A4252
	s_cselect_b32 s21, s36, s60                                // 00000000E964: 85153C24
	s_mov_b64 exec, s[20:21]                                   // 00000000E968: BEFE0114
	global_atomic_add_f32 v6, v130, s[8:9] offset:8            // 00000000E96C: DD348008 00088206
	global_atomic_add_f32 v6, v134, s[8:9] offset:264          // 00000000E974: DD348108 00088606
	s_mov_b64 exec, s[36:37]                                   // 00000000E97C: BEFE0124
	v_mov_b32_e32 v6, v57                                      // 00000000E980: 7E0C0339
	s_mov_b64 s[60:61], 0                                      // 00000000E984: BEBC0180
	v_readlane_b32 s82, v3, 14                                 // 00000000E988: D2890052 00011D03
	s_and_b32 s82, s82, 0xffffff                               // 00000000E990: 8652FF52 00FFFFFF
	s_cmp_lt_u32 s82, s66                                      // 00000000E998: BF0A4252
	s_cselect_b32 s20, s36, s60                                // 00000000E99C: 85143C24
	v_readlane_b32 s82, v3, 15                                 // 00000000E9A0: D2890052 00011F03
	s_and_b32 s82, s82, 0xffffff                               // 00000000E9A8: 8652FF52 00FFFFFF
	s_cmp_lt_u32 s82, s66                                      // 00000000E9B0: BF0A4252
	s_cselect_b32 s21, s36, s60                                // 00000000E9B4: 85153C24
	s_mov_b64 exec, s[20:21]                                   // 00000000E9B8: BEFE0114
	global_atomic_add_f32 v6, v131, s[8:9] offset:8            // 00000000E9BC: DD348008 00088306
	global_atomic_add_f32 v6, v135, s[8:9] offset:264          // 00000000E9C4: DD348108 00088706
	s_mov_b64 exec, s[36:37]                                   // 00000000E9CC: BEFE0124
	v_mov_b32_e32 v6, v58                                      // 00000000E9D0: 7E0C033A
	s_mov_b64 s[60:61], 0                                      // 00000000E9D4: BEBC0180
	v_readlane_b32 s82, v3, 16                                 // 00000000E9D8: D2890052 00012103
	s_and_b32 s82, s82, 0xffffff                               // 00000000E9E0: 8652FF52 00FFFFFF
	s_cmp_lt_u32 s82, s66                                      // 00000000E9E8: BF0A4252
	s_cselect_b32 s20, s36, s60                                // 00000000E9EC: 85143C24
	v_readlane_b32 s82, v3, 17                                 // 00000000E9F0: D2890052 00012303
	s_and_b32 s82, s82, 0xffffff                               // 00000000E9F8: 8652FF52 00FFFFFF
	s_cmp_lt_u32 s82, s66                                      // 00000000EA00: BF0A4252
	s_cselect_b32 s21, s36, s60                                // 00000000EA04: 85153C24
	s_mov_b64 exec, s[20:21]                                   // 00000000EA08: BEFE0114
	global_atomic_add_f32 v6, v138, s[8:9] offset:8            // 00000000EA0C: DD348008 00088A06
	global_atomic_add_f32 v6, v142, s[8:9] offset:264          // 00000000EA14: DD348108 00088E06
	s_mov_b64 exec, s[36:37]                                   // 00000000EA1C: BEFE0124
	v_mov_b32_e32 v6, v59                                      // 00000000EA20: 7E0C033B
	s_mov_b64 s[60:61], 0                                      // 00000000EA24: BEBC0180
	v_readlane_b32 s82, v3, 18                                 // 00000000EA28: D2890052 00012503
	s_and_b32 s82, s82, 0xffffff                               // 00000000EA30: 8652FF52 00FFFFFF
	s_cmp_lt_u32 s82, s66                                      // 00000000EA38: BF0A4252
	s_cselect_b32 s20, s36, s60                                // 00000000EA3C: 85143C24
	v_readlane_b32 s82, v3, 19                                 // 00000000EA40: D2890052 00012703
	s_and_b32 s82, s82, 0xffffff                               // 00000000EA48: 8652FF52 00FFFFFF
	s_cmp_lt_u32 s82, s66                                      // 00000000EA50: BF0A4252
	s_cselect_b32 s21, s36, s60                                // 00000000EA54: 85153C24
	s_mov_b64 exec, s[20:21]                                   // 00000000EA58: BEFE0114
	global_atomic_add_f32 v6, v139, s[8:9] offset:8            // 00000000EA5C: DD348008 00088B06
	global_atomic_add_f32 v6, v143, s[8:9] offset:264          // 00000000EA64: DD348108 00088F06
	s_mov_b64 exec, s[36:37]                                   // 00000000EA6C: BEFE0124
	s_branch label_3020                                        // 00000000EA70: BF820000

000000000000ea74 <label_3020>:
	s_waitcnt vmcnt(0) expcnt(0) lgkmcnt(0)                    // 00000000EA74: BF8C0000
	s_endpgm                                                   // 00000000EA78: BF810000
